;; amdgpu-corpus repo=ROCm/rocFFT kind=compiled arch=gfx906 opt=O3
	.text
	.amdgcn_target "amdgcn-amd-amdhsa--gfx906"
	.amdhsa_code_object_version 6
	.protected	fft_rtc_back_len289_factors_17_17_wgs_119_tpt_17_half_op_CI_CI_sbcc_dirReg_intrinsicReadWrite ; -- Begin function fft_rtc_back_len289_factors_17_17_wgs_119_tpt_17_half_op_CI_CI_sbcc_dirReg_intrinsicReadWrite
	.globl	fft_rtc_back_len289_factors_17_17_wgs_119_tpt_17_half_op_CI_CI_sbcc_dirReg_intrinsicReadWrite
	.p2align	8
	.type	fft_rtc_back_len289_factors_17_17_wgs_119_tpt_17_half_op_CI_CI_sbcc_dirReg_intrinsicReadWrite,@function
fft_rtc_back_len289_factors_17_17_wgs_119_tpt_17_half_op_CI_CI_sbcc_dirReg_intrinsicReadWrite: ; @fft_rtc_back_len289_factors_17_17_wgs_119_tpt_17_half_op_CI_CI_sbcc_dirReg_intrinsicReadWrite
; %bb.0:
	s_load_dwordx4 s[0:3], s[4:5], 0x18
	s_load_dwordx2 s[24:25], s[4:5], 0x28
	s_mov_b32 s7, 0
	s_mov_b64 s[28:29], 0
	s_waitcnt lgkmcnt(0)
	s_load_dwordx2 s[22:23], s[0:1], 0x8
	s_waitcnt lgkmcnt(0)
	s_add_u32 s8, s22, -1
	s_addc_u32 s9, s23, -1
	s_add_u32 s10, 0, 0x92481000
	s_addc_u32 s11, 0, 0x64
	s_mul_hi_u32 s13, s10, -7
	s_add_i32 s11, s11, 0x249248c0
	s_sub_i32 s13, s13, s10
	s_mul_i32 s16, s11, -7
	s_mul_i32 s12, s10, -7
	s_add_i32 s13, s13, s16
	s_mul_hi_u32 s14, s11, s12
	s_mul_i32 s15, s11, s12
	s_mul_i32 s17, s10, s13
	s_mul_hi_u32 s12, s10, s12
	s_mul_hi_u32 s16, s10, s13
	s_add_u32 s12, s12, s17
	s_addc_u32 s16, 0, s16
	s_add_u32 s12, s12, s15
	s_mul_hi_u32 s17, s11, s13
	s_addc_u32 s12, s16, s14
	s_addc_u32 s14, s17, 0
	s_mul_i32 s13, s11, s13
	s_add_u32 s12, s12, s13
	v_mov_b32_e32 v1, s12
	s_addc_u32 s13, 0, s14
	v_add_co_u32_e32 v1, vcc, s10, v1
	s_cmp_lg_u64 vcc, 0
	s_addc_u32 s10, s11, s13
	v_readfirstlane_b32 s13, v1
	s_mul_i32 s12, s8, s10
	s_mul_hi_u32 s14, s8, s13
	s_mul_hi_u32 s11, s8, s10
	s_add_u32 s12, s14, s12
	s_addc_u32 s11, 0, s11
	s_mul_hi_u32 s15, s9, s13
	s_mul_i32 s13, s9, s13
	s_add_u32 s12, s12, s13
	s_mul_hi_u32 s14, s9, s10
	s_addc_u32 s11, s11, s15
	s_addc_u32 s12, s14, 0
	s_mul_i32 s10, s9, s10
	s_add_u32 s10, s11, s10
	s_addc_u32 s11, 0, s12
	s_add_u32 s12, s10, 1
	s_addc_u32 s13, s11, 0
	s_add_u32 s14, s10, 2
	s_mul_i32 s16, s11, 7
	s_mul_hi_u32 s17, s10, 7
	s_addc_u32 s15, s11, 0
	s_add_i32 s17, s17, s16
	s_mul_i32 s16, s10, 7
	v_mov_b32_e32 v1, s16
	v_sub_co_u32_e32 v1, vcc, s8, v1
	s_cmp_lg_u64 vcc, 0
	s_subb_u32 s8, s9, s17
	v_subrev_co_u32_e32 v2, vcc, 7, v1
	s_cmp_lg_u64 vcc, 0
	s_subb_u32 s9, s8, 0
	v_readfirstlane_b32 s16, v2
	s_cmp_gt_u32 s16, 6
	s_cselect_b32 s16, -1, 0
	s_cmp_eq_u32 s9, 0
	s_cselect_b32 s9, s16, -1
	s_cmp_lg_u32 s9, 0
	s_cselect_b32 s9, s14, s12
	s_cselect_b32 s12, s15, s13
	v_readfirstlane_b32 s13, v1
	s_cmp_gt_u32 s13, 6
	s_cselect_b32 s13, -1, 0
	s_cmp_eq_u32 s8, 0
	s_cselect_b32 s8, s13, -1
	s_cmp_lg_u32 s8, 0
	s_cselect_b32 s9, s9, s10
	s_cselect_b32 s8, s12, s11
	s_add_u32 s26, s9, 1
	s_addc_u32 s27, s8, 0
	v_mov_b32_e32 v1, s26
	v_mov_b32_e32 v2, s27
	v_cmp_lt_u64_e32 vcc, s[6:7], v[1:2]
	s_cbranch_vccnz .LBB0_2
; %bb.1:
	v_cvt_f32_u32_e32 v1, s26
	s_sub_i32 s8, 0, s26
	s_mov_b32 s29, s7
	v_rcp_iflag_f32_e32 v1, v1
	v_mul_f32_e32 v1, 0x4f7ffffe, v1
	v_cvt_u32_f32_e32 v1, v1
	v_readfirstlane_b32 s9, v1
	s_mul_i32 s8, s8, s9
	s_mul_hi_u32 s8, s9, s8
	s_add_i32 s9, s9, s8
	s_mul_hi_u32 s8, s6, s9
	s_mul_i32 s10, s8, s26
	s_sub_i32 s10, s6, s10
	s_add_i32 s9, s8, 1
	s_sub_i32 s11, s10, s26
	s_cmp_ge_u32 s10, s26
	s_cselect_b32 s8, s9, s8
	s_cselect_b32 s10, s11, s10
	s_add_i32 s9, s8, 1
	s_cmp_ge_u32 s10, s26
	s_cselect_b32 s28, s9, s8
.LBB0_2:
	s_load_dwordx4 s[12:15], s[4:5], 0x60
	s_load_dwordx4 s[16:19], s[2:3], 0x0
	;; [unrolled: 1-line block ×3, first 2 shown]
	s_load_dwordx2 s[20:21], s[4:5], 0x0
	s_load_dwordx2 s[30:31], s[4:5], 0x10
	s_mul_i32 s4, s28, s27
	s_mul_hi_u32 s5, s28, s26
	s_add_i32 s5, s5, s4
	s_mul_i32 s4, s28, s26
	s_waitcnt lgkmcnt(0)
	s_sub_u32 s9, s6, s4
	s_subb_u32 s4, 0, s5
	s_mul_i32 s4, s4, 7
	s_mul_hi_u32 s17, s9, 7
	s_add_i32 s17, s17, s4
	s_mul_i32 s9, s9, 7
	s_mul_i32 s4, s18, s17
	s_mul_hi_u32 s5, s18, s9
	s_add_i32 s4, s5, s4
	s_mul_i32 s5, s19, s9
	s_add_i32 s33, s4, s5
	s_mul_i32 s4, s10, s17
	s_mul_hi_u32 s5, s10, s9
	s_add_i32 s4, s5, s4
	s_mul_i32 s5, s11, s9
	s_add_i32 s46, s4, s5
	v_cmp_lt_u64_e64 s[4:5], s[30:31], 3
	s_mul_i32 s19, s18, s9
	s_mul_i32 s11, s10, s9
	s_and_b64 vcc, exec, s[4:5]
	s_cbranch_vccnz .LBB0_12
; %bb.3:
	s_add_u32 s4, s24, 16
	s_addc_u32 s5, s25, 0
	s_add_u32 s34, s2, 16
	s_addc_u32 s35, s3, 0
	s_add_u32 s36, s0, 16
	v_mov_b32_e32 v1, s30
	s_addc_u32 s37, s1, 0
	s_mov_b64 s[38:39], 2
	s_mov_b32 s40, 0
	v_mov_b32_e32 v2, s31
.LBB0_4:                                ; =>This Inner Loop Header: Depth=1
	s_load_dwordx2 s[42:43], s[36:37], 0x0
	s_waitcnt lgkmcnt(0)
	s_or_b64 s[0:1], s[28:29], s[42:43]
	s_mov_b32 s41, s1
	s_cmp_lg_u64 s[40:41], 0
	s_cbranch_scc0 .LBB0_9
; %bb.5:                                ;   in Loop: Header=BB0_4 Depth=1
	v_cvt_f32_u32_e32 v3, s42
	v_cvt_f32_u32_e32 v4, s43
	s_sub_u32 s0, 0, s42
	s_subb_u32 s1, 0, s43
	v_mac_f32_e32 v3, 0x4f800000, v4
	v_rcp_f32_e32 v3, v3
	v_mul_f32_e32 v3, 0x5f7ffffc, v3
	v_mul_f32_e32 v4, 0x2f800000, v3
	v_trunc_f32_e32 v4, v4
	v_mac_f32_e32 v3, 0xcf800000, v4
	v_cvt_u32_f32_e32 v4, v4
	v_cvt_u32_f32_e32 v3, v3
	v_readfirstlane_b32 s41, v4
	v_readfirstlane_b32 s44, v3
	s_mul_i32 s45, s0, s41
	s_mul_hi_u32 s48, s0, s44
	s_mul_i32 s47, s1, s44
	s_add_i32 s45, s48, s45
	s_mul_i32 s49, s0, s44
	s_add_i32 s45, s45, s47
	s_mul_hi_u32 s47, s44, s45
	s_mul_i32 s48, s44, s45
	s_mul_hi_u32 s44, s44, s49
	s_add_u32 s44, s44, s48
	s_addc_u32 s47, 0, s47
	s_mul_hi_u32 s50, s41, s49
	s_mul_i32 s49, s41, s49
	s_add_u32 s44, s44, s49
	s_mul_hi_u32 s48, s41, s45
	s_addc_u32 s44, s47, s50
	s_addc_u32 s47, s48, 0
	s_mul_i32 s45, s41, s45
	s_add_u32 s44, s44, s45
	s_addc_u32 s45, 0, s47
	v_add_co_u32_e32 v3, vcc, s44, v3
	s_cmp_lg_u64 vcc, 0
	s_addc_u32 s41, s41, s45
	v_readfirstlane_b32 s45, v3
	s_mul_i32 s44, s0, s41
	s_mul_hi_u32 s47, s0, s45
	s_add_i32 s44, s47, s44
	s_mul_i32 s1, s1, s45
	s_add_i32 s44, s44, s1
	s_mul_i32 s0, s0, s45
	s_mul_hi_u32 s47, s41, s0
	s_mul_i32 s48, s41, s0
	s_mul_i32 s50, s45, s44
	s_mul_hi_u32 s0, s45, s0
	s_mul_hi_u32 s49, s45, s44
	s_add_u32 s0, s0, s50
	s_addc_u32 s45, 0, s49
	s_add_u32 s0, s0, s48
	s_mul_hi_u32 s1, s41, s44
	s_addc_u32 s0, s45, s47
	s_addc_u32 s1, s1, 0
	s_mul_i32 s44, s41, s44
	s_add_u32 s0, s0, s44
	s_addc_u32 s1, 0, s1
	v_add_co_u32_e32 v3, vcc, s0, v3
	s_cmp_lg_u64 vcc, 0
	s_addc_u32 s0, s41, s1
	v_readfirstlane_b32 s44, v3
	s_mul_i32 s41, s28, s0
	s_mul_hi_u32 s45, s28, s44
	s_mul_hi_u32 s1, s28, s0
	s_add_u32 s41, s45, s41
	s_addc_u32 s1, 0, s1
	s_mul_hi_u32 s47, s29, s44
	s_mul_i32 s44, s29, s44
	s_add_u32 s41, s41, s44
	s_mul_hi_u32 s45, s29, s0
	s_addc_u32 s1, s1, s47
	s_addc_u32 s41, s45, 0
	s_mul_i32 s0, s29, s0
	s_add_u32 s44, s1, s0
	s_addc_u32 s41, 0, s41
	s_mul_i32 s0, s42, s41
	s_mul_hi_u32 s1, s42, s44
	s_add_i32 s0, s1, s0
	s_mul_i32 s1, s43, s44
	s_add_i32 s45, s0, s1
	s_mul_i32 s1, s42, s44
	v_mov_b32_e32 v3, s1
	s_sub_i32 s0, s29, s45
	v_sub_co_u32_e32 v3, vcc, s28, v3
	s_cmp_lg_u64 vcc, 0
	s_subb_u32 s47, s0, s43
	v_subrev_co_u32_e64 v4, s[0:1], s42, v3
	s_cmp_lg_u64 s[0:1], 0
	s_subb_u32 s0, s47, 0
	s_cmp_ge_u32 s0, s43
	v_readfirstlane_b32 s47, v4
	s_cselect_b32 s1, -1, 0
	s_cmp_ge_u32 s47, s42
	s_cselect_b32 s47, -1, 0
	s_cmp_eq_u32 s0, s43
	s_cselect_b32 s0, s47, s1
	s_add_u32 s1, s44, 1
	s_addc_u32 s47, s41, 0
	s_add_u32 s48, s44, 2
	s_addc_u32 s49, s41, 0
	s_cmp_lg_u32 s0, 0
	s_cselect_b32 s0, s48, s1
	s_cselect_b32 s1, s49, s47
	s_cmp_lg_u64 vcc, 0
	s_subb_u32 s45, s29, s45
	s_cmp_ge_u32 s45, s43
	v_readfirstlane_b32 s48, v3
	s_cselect_b32 s47, -1, 0
	s_cmp_ge_u32 s48, s42
	s_cselect_b32 s48, -1, 0
	s_cmp_eq_u32 s45, s43
	s_cselect_b32 s45, s48, s47
	s_cmp_lg_u32 s45, 0
	s_cselect_b32 s1, s1, s41
	s_cselect_b32 s0, s0, s44
	s_cbranch_execnz .LBB0_7
.LBB0_6:                                ;   in Loop: Header=BB0_4 Depth=1
	v_cvt_f32_u32_e32 v3, s42
	s_sub_i32 s0, 0, s42
	v_rcp_iflag_f32_e32 v3, v3
	v_mul_f32_e32 v3, 0x4f7ffffe, v3
	v_cvt_u32_f32_e32 v3, v3
	v_readfirstlane_b32 s1, v3
	s_mul_i32 s0, s0, s1
	s_mul_hi_u32 s0, s1, s0
	s_add_i32 s1, s1, s0
	s_mul_hi_u32 s0, s28, s1
	s_mul_i32 s41, s0, s42
	s_sub_i32 s41, s28, s41
	s_add_i32 s1, s0, 1
	s_sub_i32 s44, s41, s42
	s_cmp_ge_u32 s41, s42
	s_cselect_b32 s0, s1, s0
	s_cselect_b32 s41, s44, s41
	s_add_i32 s1, s0, 1
	s_cmp_ge_u32 s41, s42
	s_cselect_b32 s0, s1, s0
	s_mov_b32 s1, s40
.LBB0_7:                                ;   in Loop: Header=BB0_4 Depth=1
	s_mul_i32 s27, s42, s27
	s_mul_hi_u32 s41, s42, s26
	s_add_i32 s27, s41, s27
	s_mul_i32 s41, s43, s26
	s_add_i32 s27, s27, s41
	s_mul_i32 s41, s0, s43
	s_mul_hi_u32 s43, s0, s42
	s_load_dwordx2 s[44:45], s[34:35], 0x0
	s_add_i32 s41, s43, s41
	s_mul_i32 s43, s1, s42
	s_mul_i32 s26, s42, s26
	s_add_i32 s41, s41, s43
	s_mul_i32 s42, s0, s42
	s_sub_u32 s42, s28, s42
	s_subb_u32 s41, s29, s41
	s_waitcnt lgkmcnt(0)
	s_mul_i32 s28, s44, s41
	s_mul_hi_u32 s29, s44, s42
	s_add_i32 s43, s29, s28
	s_load_dwordx2 s[28:29], s[4:5], 0x0
	s_mul_i32 s45, s45, s42
	s_add_i32 s43, s43, s45
	s_mul_i32 s44, s44, s42
	s_add_u32 s19, s44, s19
	s_addc_u32 s33, s43, s33
	s_waitcnt lgkmcnt(0)
	s_mul_i32 s41, s28, s41
	s_mul_hi_u32 s43, s28, s42
	s_add_i32 s41, s43, s41
	s_mul_i32 s29, s29, s42
	s_add_i32 s41, s41, s29
	s_mul_i32 s28, s28, s42
	s_add_u32 s11, s28, s11
	s_addc_u32 s46, s41, s46
	s_add_u32 s38, s38, 1
	s_addc_u32 s39, s39, 0
	;; [unrolled: 2-line block ×4, first 2 shown]
	v_cmp_ge_u64_e32 vcc, s[38:39], v[1:2]
	s_add_u32 s36, s36, 8
	s_addc_u32 s37, s37, 0
	s_cbranch_vccnz .LBB0_10
; %bb.8:                                ;   in Loop: Header=BB0_4 Depth=1
	s_mov_b64 s[28:29], s[0:1]
	s_branch .LBB0_4
.LBB0_9:                                ;   in Loop: Header=BB0_4 Depth=1
                                        ; implicit-def: $sgpr0_sgpr1
	s_branch .LBB0_6
.LBB0_10:
	v_mov_b32_e32 v1, s26
	v_mov_b32_e32 v2, s27
	v_cmp_lt_u64_e32 vcc, s[6:7], v[1:2]
	s_mov_b64 s[28:29], 0
	s_cbranch_vccnz .LBB0_12
; %bb.11:
	v_cvt_f32_u32_e32 v1, s26
	s_sub_i32 s0, 0, s26
	v_rcp_iflag_f32_e32 v1, v1
	v_mul_f32_e32 v1, 0x4f7ffffe, v1
	v_cvt_u32_f32_e32 v1, v1
	v_readfirstlane_b32 s1, v1
	s_mul_i32 s0, s0, s1
	s_mul_hi_u32 s0, s1, s0
	s_add_i32 s1, s1, s0
	s_mul_hi_u32 s0, s6, s1
	s_mul_i32 s4, s0, s26
	s_sub_i32 s4, s6, s4
	s_add_i32 s1, s0, 1
	s_sub_i32 s5, s4, s26
	s_cmp_ge_u32 s4, s26
	s_cselect_b32 s0, s1, s0
	s_cselect_b32 s4, s5, s4
	s_add_i32 s1, s0, 1
	s_cmp_ge_u32 s4, s26
	s_cselect_b32 s28, s1, s0
.LBB0_12:
	s_lshl_b64 s[0:1], s[30:31], 3
	s_add_u32 s2, s2, s0
	s_addc_u32 s3, s3, s1
	s_load_dword s2, s[2:3], 0x0
	v_mul_u32_u24_e32 v1, 0x2493, v0
	v_lshrrev_b32_e32 v1, 16, v1
	v_mov_b32_e32 v4, s22
	v_mul_lo_u16_e32 v3, 7, v1
	s_waitcnt lgkmcnt(0)
	s_mul_i32 s2, s2, s28
	s_add_i32 s2, s2, s19
	s_add_u32 s0, s24, s0
	s_addc_u32 s1, s25, s1
	s_load_dword s0, s[0:1], 0x0
	v_mov_b32_e32 v5, s23
	v_sub_u16_e32 v3, v0, v3
	v_mov_b32_e32 v2, s17
	v_mul_lo_u32 v6, s16, v1
	s_waitcnt lgkmcnt(0)
	s_mul_i32 s4, s0, s28
	s_add_i32 s4, s4, s11
	s_add_u32 s0, s9, 7
	s_addc_u32 s1, s17, 0
	v_mul_lo_u32 v7, s18, v3
	v_cmp_le_u64_e32 vcc, s[0:1], v[4:5]
	v_add_co_u32_e64 v4, s[0:1], s9, v3
	v_addc_co_u32_e64 v5, s[0:1], 0, v2, s[0:1]
	v_cmp_gt_u64_e64 s[0:1], s[22:23], v[4:5]
	v_add_lshl_u32 v2, v7, v6, 2
	s_or_b64 vcc, vcc, s[0:1]
	v_cndmask_b32_e32 v4, -1, v2, vcc
	v_add_u32_e32 v2, 17, v1
	v_mul_lo_u32 v2, s16, v2
	v_add_u32_e32 v5, 34, v1
	v_mul_lo_u32 v5, s16, v5
	v_add_u32_e32 v8, 0x44, v1
	v_add_lshl_u32 v2, v7, v2, 2
	v_cndmask_b32_e32 v6, -1, v2, vcc
	v_add_lshl_u32 v2, v7, v5, 2
	v_add_u32_e32 v5, 51, v1
	v_mul_lo_u32 v5, s16, v5
	v_mul_lo_u32 v8, s16, v8
	v_cndmask_b32_e32 v9, -1, v2, vcc
	v_add_u32_e32 v10, 0x66, v1
	v_add_lshl_u32 v2, v7, v5, 2
	v_cndmask_b32_e32 v5, -1, v2, vcc
	v_add_lshl_u32 v2, v7, v8, 2
	v_add_u32_e32 v8, 0x55, v1
	v_mul_lo_u32 v8, s16, v8
	v_mul_lo_u32 v10, s16, v10
	v_cndmask_b32_e32 v11, -1, v2, vcc
	s_lshl_b32 s5, s2, 2
	v_add_lshl_u32 v2, v7, v8, 2
	v_add_u32_e32 v8, 0x77, v1
	v_mul_lo_u32 v8, s16, v8
	v_cndmask_b32_e32 v12, -1, v2, vcc
	v_add_lshl_u32 v2, v7, v10, 2
	v_cndmask_b32_e32 v14, -1, v2, vcc
	v_add_u32_e32 v2, 0x88, v1
	s_mov_b32 s3, 0x20000
	s_mov_b32 s2, -2
	s_mov_b32 s0, s12
	s_mov_b32 s1, s13
	v_mul_lo_u32 v15, s16, v2
	v_add_lshl_u32 v2, v7, v8, 2
	v_cndmask_b32_e32 v16, -1, v2, vcc
	buffer_load_dword v2, v4, s[0:3], s5 offen
	buffer_load_dword v21, v6, s[0:3], s5 offen
	;; [unrolled: 1-line block ×8, first 2 shown]
	v_add_u32_e32 v11, 0xcc, v1
	v_mul_lo_u32 v11, s16, v11
	v_add_u32_e32 v12, 0xdd, v1
	v_mul_lo_u32 v12, s16, v12
	;; [unrolled: 2-line block ×3, first 2 shown]
	v_add_lshl_u32 v11, v7, v11, 2
	v_cndmask_b32_e32 v23, -1, v11, vcc
	v_add_lshl_u32 v11, v7, v12, 2
	v_add_u32_e32 v5, 0x99, v1
	v_add_u32_e32 v6, 0xaa, v1
	;; [unrolled: 1-line block ×3, first 2 shown]
	v_cndmask_b32_e32 v12, -1, v11, vcc
	v_add_lshl_u32 v11, v7, v14, 2
	v_add_u32_e32 v14, 0xff, v1
	v_mul_lo_u32 v5, s16, v5
	v_mul_lo_u32 v6, s16, v6
	;; [unrolled: 1-line block ×4, first 2 shown]
	v_cndmask_b32_e32 v24, -1, v11, vcc
	v_add_u32_e32 v11, 0x110, v1
	v_mul_lo_u32 v25, s16, v11
	v_add_lshl_u32 v4, v7, v15, 2
	v_cndmask_b32_e32 v4, -1, v4, vcc
	v_add_lshl_u32 v5, v7, v5, 2
	v_add_lshl_u32 v6, v7, v6, 2
	;; [unrolled: 1-line block ×4, first 2 shown]
	v_cndmask_b32_e32 v5, -1, v5, vcc
	v_cndmask_b32_e32 v6, -1, v6, vcc
	;; [unrolled: 1-line block ×4, first 2 shown]
	buffer_load_dword v15, v4, s[0:3], s5 offen
	buffer_load_dword v16, v5, s[0:3], s5 offen
	buffer_load_dword v20, v6, s[0:3], s5 offen
	buffer_load_dword v19, v9, s[0:3], s5 offen
	buffer_load_dword v14, v23, s[0:3], s5 offen
	buffer_load_dword v11, v12, s[0:3], s5 offen
	buffer_load_dword v27, v24, s[0:3], s5 offen
	buffer_load_dword v28, v26, s[0:3], s5 offen
	v_add_lshl_u32 v4, v7, v25, 2
	v_cndmask_b32_e32 v4, -1, v4, vcc
	buffer_load_dword v4, v4, s[0:3], s5 offen
	s_mov_b32 s16, 0xb5c8
	s_movk_i32 s7, 0x39e9
	s_movk_i32 s12, 0x3722
	;; [unrolled: 1-line block ×3, first 2 shown]
	s_mov_b32 s19, 0xb461
	s_mov_b32 s24, 0xb8d2
	;; [unrolled: 1-line block ×4, first 2 shown]
	s_movk_i32 s17, 0x3b76
	s_mov_b32 s6, 0xb964
	s_movk_i32 s9, 0x3964
	s_mov_b32 s11, 0xbb29
	;; [unrolled: 2-line block ×8, first 2 shown]
	s_movk_i32 s33, 0x35c8
	v_mul_u32_u24_e32 v0, 0x227, v0
	s_lshl_b32 s4, s4, 2
	s_waitcnt vmcnt(15)
	v_pk_add_f16 v5, v2, v21
	s_waitcnt vmcnt(14)
	v_pk_add_f16 v5, v5, v22
	;; [unrolled: 2-line block ×15, first 2 shown]
	v_pk_add_f16 v52, v22, v28
	v_pk_add_f16 v22, v22, v28 neg_lo:[0,1] neg_hi:[0,1]
	s_waitcnt vmcnt(0)
	v_pk_add_f16 v6, v21, v4
	v_pk_add_f16 v7, v21, v4 neg_lo:[0,1] neg_hi:[0,1]
	v_pk_add_f16 v12, v5, v4
	v_pk_mul_f16 v5, v7, s16 op_sel_hi:[1,0]
	v_mul_f16_sdwa v24, v6, s7 dst_sel:DWORD dst_unused:UNUSED_PAD src0_sel:WORD_1 src1_sel:DWORD
	v_mul_f16_sdwa v30, v6, s12 dst_sel:DWORD dst_unused:UNUSED_PAD src0_sel:WORD_1 src1_sel:DWORD
	;; [unrolled: 1-line block ×7, first 2 shown]
	v_pk_fma_f16 v4, v6, s17, v5 op_sel:[0,0,1] op_sel_hi:[1,0,0]
	v_pk_fma_f16 v5, v6, s17, v5 op_sel:[0,0,1] op_sel_hi:[1,0,0] neg_lo:[0,0,1] neg_hi:[0,0,1]
	v_mul_f16_sdwa v21, v7, s6 dst_sel:DWORD dst_unused:UNUSED_PAD src0_sel:WORD_1 src1_sel:DWORD
	v_fma_f16 v25, v7, s9, v24
	v_fma_f16 v24, v7, s6, v24
	v_mul_f16_sdwa v26, v7, s11 dst_sel:DWORD dst_unused:UNUSED_PAD src0_sel:WORD_1 src1_sel:DWORD
	v_fma_f16 v31, v7, s13, v30
	v_fma_f16 v30, v7, s11, v30
	;; [unrolled: 3-line block ×7, first 2 shown]
	v_pk_mul_f16 v7, v22, s6 op_sel_hi:[1,0]
	v_bfi_b32 v9, s34, v4, v5
	v_fma_f16 v23, v6, s7, v21
	v_fma_f16 v21, v6, s7, -v21
	v_fma_f16 v29, v6, s12, v26
	v_fma_f16 v26, v6, s12, -v26
	;; [unrolled: 2-line block ×7, first 2 shown]
	v_pk_fma_f16 v6, v52, s7, v7 op_sel:[0,0,1] op_sel_hi:[1,0,0]
	v_pk_fma_f16 v7, v52, s7, v7 op_sel:[0,0,1] op_sel_hi:[1,0,0] neg_lo:[0,0,1] neg_hi:[0,0,1]
	v_pk_add_f16 v9, v9, v2
	v_bfi_b32 v28, s34, v6, v7
	v_pk_add_f16 v28, v28, v9
	v_mul_f16_sdwa v9, v22, s1 dst_sel:DWORD dst_unused:UNUSED_PAD src0_sel:WORD_1 src1_sel:DWORD
	v_add_f16_e32 v23, v23, v2
	v_fma_f16 v53, v52, s5, v9
	v_add_f16_e32 v23, v53, v23
	v_mul_f16_sdwa v53, v52, s5 dst_sel:DWORD dst_unused:UNUSED_PAD src0_sel:WORD_1 src1_sel:DWORD
	v_add_f16_e32 v21, v21, v2
	v_fma_f16 v9, v52, s5, -v9
	v_add_f16_e32 v21, v9, v21
	v_add_f16_sdwa v9, v24, v2 dst_sel:DWORD dst_unused:UNUSED_PAD src0_sel:DWORD src1_sel:WORD_1
	v_add_f16_e32 v24, v29, v2
	v_fma_f16 v29, v22, s1, v53
	v_add_f16_e32 v29, v29, v9
	v_mul_f16_sdwa v9, v22, s23 dst_sel:DWORD dst_unused:UNUSED_PAD src0_sel:WORD_1 src1_sel:DWORD
	v_fma_f16 v54, v22, s0, v53
	v_fma_f16 v53, v52, s24, v9
	v_add_f16_e32 v24, v53, v24
	v_mul_f16_sdwa v53, v52, s24 dst_sel:DWORD dst_unused:UNUSED_PAD src0_sel:WORD_1 src1_sel:DWORD
	v_add_f16_e32 v26, v26, v2
	v_fma_f16 v9, v52, s24, -v9
	v_add_f16_e32 v26, v9, v26
	v_add_f16_sdwa v9, v30, v2 dst_sel:DWORD dst_unused:UNUSED_PAD src0_sel:DWORD src1_sel:WORD_1
	v_add_f16_e32 v30, v33, v2
	v_fma_f16 v33, v22, s23, v53
	v_add_f16_sdwa v25, v25, v2 dst_sel:DWORD dst_unused:UNUSED_PAD src0_sel:DWORD src1_sel:WORD_1
	v_add_f16_e32 v33, v33, v9
	v_mul_f16_sdwa v9, v22, s29 dst_sel:DWORD dst_unused:UNUSED_PAD src0_sel:WORD_1 src1_sel:DWORD
	v_add_f16_e32 v25, v54, v25
	v_fma_f16 v54, v22, s25, v53
	v_fma_f16 v53, v52, s30, v9
	v_add_f16_e32 v30, v53, v30
	v_mul_f16_sdwa v53, v52, s30 dst_sel:DWORD dst_unused:UNUSED_PAD src0_sel:WORD_1 src1_sel:DWORD
	v_add_f16_e32 v32, v32, v2
	v_fma_f16 v9, v52, s30, -v9
	v_add_f16_e32 v32, v9, v32
	v_add_f16_sdwa v9, v34, v2 dst_sel:DWORD dst_unused:UNUSED_PAD src0_sel:DWORD src1_sel:WORD_1
	v_add_f16_e32 v34, v37, v2
	v_fma_f16 v37, v22, s29, v53
	v_add_f16_sdwa v31, v31, v2 dst_sel:DWORD dst_unused:UNUSED_PAD src0_sel:DWORD src1_sel:WORD_1
	v_add_f16_e32 v37, v37, v9
	v_mul_f16_sdwa v9, v22, s28 dst_sel:DWORD dst_unused:UNUSED_PAD src0_sel:WORD_1 src1_sel:DWORD
	v_add_f16_e32 v31, v54, v31
	;; [unrolled: 14-line block ×5, first 2 shown]
	v_fma_f16 v54, v22, s11, v53
	v_fma_f16 v53, v52, s17, v9
	v_add_f16_e32 v46, v53, v46
	v_mul_f16_sdwa v53, v52, s17 dst_sel:DWORD dst_unused:UNUSED_PAD src0_sel:WORD_1 src1_sel:DWORD
	v_fma_f16 v9, v52, s17, -v9
	v_add_f16_e32 v48, v48, v2
	v_add_f16_sdwa v47, v47, v2 dst_sel:DWORD dst_unused:UNUSED_PAD src0_sel:DWORD src1_sel:WORD_1
	v_add_f16_sdwa v50, v50, v2 dst_sel:DWORD dst_unused:UNUSED_PAD src0_sel:DWORD src1_sel:WORD_1
	v_add_f16_e32 v48, v9, v48
	v_fma_f16 v9, v22, s33, v53
	v_add_f16_e32 v47, v54, v47
	v_fma_f16 v54, v22, s16, v53
	v_add_f16_e32 v22, v9, v50
	v_pk_add_f16 v50, v8, v27
	v_pk_add_f16 v27, v8, v27 neg_lo:[0,1] neg_hi:[0,1]
	v_pk_mul_f16 v9, v27, s11 op_sel_hi:[1,0]
	v_pk_fma_f16 v8, v50, s12, v9 op_sel:[0,0,1] op_sel_hi:[1,0,0]
	v_pk_fma_f16 v9, v50, s12, v9 op_sel:[0,0,1] op_sel_hi:[1,0,0] neg_lo:[0,0,1] neg_hi:[0,0,1]
	v_bfi_b32 v52, s34, v8, v9
	v_pk_add_f16 v28, v52, v28
	v_mul_f16_sdwa v52, v27, s23 dst_sel:DWORD dst_unused:UNUSED_PAD src0_sel:WORD_1 src1_sel:DWORD
	v_fma_f16 v53, v50, s24, v52
	v_add_f16_e32 v23, v53, v23
	v_mul_f16_sdwa v53, v50, s24 dst_sel:DWORD dst_unused:UNUSED_PAD src0_sel:WORD_1 src1_sel:DWORD
	v_fma_f16 v52, v50, s24, -v52
	v_add_f16_e32 v21, v52, v21
	v_fma_f16 v52, v27, s23, v53
	v_add_f16_sdwa v51, v51, v2 dst_sel:DWORD dst_unused:UNUSED_PAD src0_sel:DWORD src1_sel:WORD_1
	v_add_f16_e32 v29, v52, v29
	v_mul_f16_sdwa v52, v27, s31 dst_sel:DWORD dst_unused:UNUSED_PAD src0_sel:WORD_1 src1_sel:DWORD
	v_add_f16_e32 v51, v54, v51
	v_fma_f16 v54, v27, s25, v53
	v_fma_f16 v53, v50, s30, v52
	v_add_f16_e32 v24, v53, v24
	v_mul_f16_sdwa v53, v50, s30 dst_sel:DWORD dst_unused:UNUSED_PAD src0_sel:WORD_1 src1_sel:DWORD
	v_fma_f16 v52, v50, s30, -v52
	v_add_f16_e32 v26, v52, v26
	v_fma_f16 v52, v27, s31, v53
	v_add_f16_e32 v33, v52, v33
	v_mul_f16_sdwa v52, v27, s22 dst_sel:DWORD dst_unused:UNUSED_PAD src0_sel:WORD_1 src1_sel:DWORD
	v_add_f16_e32 v25, v54, v25
	v_fma_f16 v54, v27, s29, v53
	v_fma_f16 v53, v50, s19, v52
	v_add_f16_e32 v30, v53, v30
	v_mul_f16_sdwa v53, v50, s19 dst_sel:DWORD dst_unused:UNUSED_PAD src0_sel:WORD_1 src1_sel:DWORD
	v_fma_f16 v52, v50, s19, -v52
	v_add_f16_e32 v32, v52, v32
	v_fma_f16 v52, v27, s22, v53
	;; [unrolled: 10-line block ×6, first 2 shown]
	v_add_f16_e32 v48, v50, v48
	v_fma_f16 v27, v27, s26, v53
	v_pk_add_f16 v50, v10, v11 neg_lo:[0,1] neg_hi:[0,1]
	v_add_f16_e32 v22, v27, v22
	v_pk_add_f16 v27, v10, v11
	v_pk_mul_f16 v11, v50, s1 op_sel_hi:[1,0]
	v_pk_fma_f16 v10, v27, s5, v11 op_sel:[0,0,1] op_sel_hi:[1,0,0]
	v_pk_fma_f16 v11, v27, s5, v11 op_sel:[0,0,1] op_sel_hi:[1,0,0] neg_lo:[0,0,1] neg_hi:[0,0,1]
	v_bfi_b32 v52, s34, v10, v11
	v_pk_add_f16 v28, v52, v28
	v_mul_f16_sdwa v52, v50, s29 dst_sel:DWORD dst_unused:UNUSED_PAD src0_sel:WORD_1 src1_sel:DWORD
	v_fma_f16 v53, v27, s30, v52
	v_add_f16_e32 v23, v53, v23
	v_mul_f16_sdwa v53, v27, s30 dst_sel:DWORD dst_unused:UNUSED_PAD src0_sel:WORD_1 src1_sel:DWORD
	v_fma_f16 v52, v27, s30, -v52
	v_add_f16_e32 v21, v52, v21
	v_fma_f16 v52, v50, s29, v53
	v_add_f16_e32 v29, v52, v29
	v_mul_f16_sdwa v52, v50, s22 dst_sel:DWORD dst_unused:UNUSED_PAD src0_sel:WORD_1 src1_sel:DWORD
	v_add_f16_e32 v51, v54, v51
	v_fma_f16 v54, v50, s31, v53
	v_fma_f16 v53, v27, s19, v52
	v_add_f16_e32 v24, v53, v24
	v_mul_f16_sdwa v53, v27, s19 dst_sel:DWORD dst_unused:UNUSED_PAD src0_sel:WORD_1 src1_sel:DWORD
	v_fma_f16 v52, v27, s19, -v52
	v_add_f16_e32 v26, v52, v26
	v_fma_f16 v52, v50, s22, v53
	v_add_f16_e32 v33, v52, v33
	v_mul_f16_sdwa v52, v50, s33 dst_sel:DWORD dst_unused:UNUSED_PAD src0_sel:WORD_1 src1_sel:DWORD
	v_add_f16_e32 v25, v54, v25
	v_fma_f16 v54, v50, s18, v53
	;; [unrolled: 10-line block ×6, first 2 shown]
	v_fma_f16 v53, v27, s7, v52
	v_add_f16_e32 v46, v53, v46
	v_mul_f16_sdwa v53, v27, s7 dst_sel:DWORD dst_unused:UNUSED_PAD src0_sel:WORD_1 src1_sel:DWORD
	v_fma_f16 v27, v27, s7, -v52
	v_add_f16_e32 v47, v54, v47
	v_fma_f16 v54, v50, s6, v53
	v_add_f16_e32 v27, v27, v48
	v_fma_f16 v48, v50, s9, v53
	v_pk_add_f16 v50, v13, v14 neg_lo:[0,1] neg_hi:[0,1]
	v_add_f16_e32 v22, v48, v22
	v_pk_add_f16 v48, v13, v14
	v_pk_mul_f16 v14, v50, s18 op_sel_hi:[1,0]
	v_pk_fma_f16 v13, v48, s19, v14 op_sel:[0,0,1] op_sel_hi:[1,0,0]
	v_pk_fma_f16 v14, v48, s19, v14 op_sel:[0,0,1] op_sel_hi:[1,0,0] neg_lo:[0,0,1] neg_hi:[0,0,1]
	v_bfi_b32 v52, s34, v13, v14
	v_pk_add_f16 v28, v52, v28
	v_mul_f16_sdwa v52, v50, s28 dst_sel:DWORD dst_unused:UNUSED_PAD src0_sel:WORD_1 src1_sel:DWORD
	v_fma_f16 v53, v48, s27, v52
	v_add_f16_e32 v23, v53, v23
	v_mul_f16_sdwa v53, v48, s27 dst_sel:DWORD dst_unused:UNUSED_PAD src0_sel:WORD_1 src1_sel:DWORD
	v_fma_f16 v52, v48, s27, -v52
	v_add_f16_e32 v21, v52, v21
	v_fma_f16 v52, v50, s28, v53
	v_add_f16_e32 v29, v52, v29
	v_mul_f16_sdwa v52, v50, s9 dst_sel:DWORD dst_unused:UNUSED_PAD src0_sel:WORD_1 src1_sel:DWORD
	v_add_f16_e32 v51, v54, v51
	v_fma_f16 v54, v50, s26, v53
	v_fma_f16 v53, v48, s7, v52
	v_add_f16_e32 v24, v53, v24
	v_mul_f16_sdwa v53, v48, s7 dst_sel:DWORD dst_unused:UNUSED_PAD src0_sel:WORD_1 src1_sel:DWORD
	v_fma_f16 v52, v48, s7, -v52
	v_add_f16_e32 v26, v52, v26
	v_fma_f16 v52, v50, s9, v53
	v_add_f16_e32 v33, v52, v33
	v_mul_f16_sdwa v52, v50, s11 dst_sel:DWORD dst_unused:UNUSED_PAD src0_sel:WORD_1 src1_sel:DWORD
	v_add_f16_e32 v25, v54, v25
	v_fma_f16 v54, v50, s6, v53
	;; [unrolled: 10-line block ×6, first 2 shown]
	v_fma_f16 v53, v48, s24, v52
	v_add_f16_e32 v46, v53, v46
	v_mul_f16_sdwa v53, v48, s24 dst_sel:DWORD dst_unused:UNUSED_PAD src0_sel:WORD_1 src1_sel:DWORD
	v_fma_f16 v48, v48, s24, -v52
	v_add_f16_e32 v47, v54, v47
	v_fma_f16 v54, v50, s25, v53
	v_add_f16_e32 v27, v48, v27
	v_fma_f16 v48, v50, s23, v53
	v_pk_add_f16 v50, v18, v19 neg_lo:[0,1] neg_hi:[0,1]
	v_add_f16_e32 v22, v48, v22
	v_pk_add_f16 v48, v18, v19
	v_pk_mul_f16 v19, v50, s23 op_sel_hi:[1,0]
	v_pk_fma_f16 v18, v48, s24, v19 op_sel:[0,0,1] op_sel_hi:[1,0,0]
	v_pk_fma_f16 v19, v48, s24, v19 op_sel:[0,0,1] op_sel_hi:[1,0,0] neg_lo:[0,0,1] neg_hi:[0,0,1]
	v_bfi_b32 v52, s34, v18, v19
	v_pk_add_f16 v28, v52, v28
	v_mul_f16_sdwa v52, v50, s22 dst_sel:DWORD dst_unused:UNUSED_PAD src0_sel:WORD_1 src1_sel:DWORD
	v_fma_f16 v53, v48, s19, v52
	v_add_f16_e32 v23, v53, v23
	v_mul_f16_sdwa v53, v48, s19 dst_sel:DWORD dst_unused:UNUSED_PAD src0_sel:WORD_1 src1_sel:DWORD
	v_fma_f16 v52, v48, s19, -v52
	v_add_f16_e32 v21, v52, v21
	v_fma_f16 v52, v50, s22, v53
	v_add_f16_e32 v29, v52, v29
	v_mul_f16_sdwa v52, v50, s16 dst_sel:DWORD dst_unused:UNUSED_PAD src0_sel:WORD_1 src1_sel:DWORD
	v_add_f16_e32 v51, v54, v51
	v_fma_f16 v54, v50, s18, v53
	v_fma_f16 v53, v48, s17, v52
	v_add_f16_e32 v24, v53, v24
	v_mul_f16_sdwa v53, v48, s17 dst_sel:DWORD dst_unused:UNUSED_PAD src0_sel:WORD_1 src1_sel:DWORD
	v_fma_f16 v52, v48, s17, -v52
	v_add_f16_e32 v26, v52, v26
	v_fma_f16 v52, v50, s16, v53
	v_add_f16_e32 v33, v52, v33
	v_mul_f16_sdwa v52, v50, s26 dst_sel:DWORD dst_unused:UNUSED_PAD src0_sel:WORD_1 src1_sel:DWORD
	v_add_f16_e32 v25, v54, v25
	v_fma_f16 v54, v50, s33, v53
	;; [unrolled: 10-line block ×6, first 2 shown]
	v_fma_f16 v53, v48, s12, v52
	v_add_f16_e32 v46, v53, v46
	v_mul_f16_sdwa v53, v48, s12 dst_sel:DWORD dst_unused:UNUSED_PAD src0_sel:WORD_1 src1_sel:DWORD
	v_fma_f16 v48, v48, s12, -v52
	v_add_f16_e32 v47, v54, v47
	v_fma_f16 v54, v50, s11, v53
	v_add_f16_e32 v27, v48, v27
	v_fma_f16 v48, v50, s13, v53
	v_pk_add_f16 v50, v17, v20 neg_lo:[0,1] neg_hi:[0,1]
	v_add_f16_e32 v22, v48, v22
	v_pk_add_f16 v48, v17, v20
	v_pk_mul_f16 v20, v50, s26 op_sel_hi:[1,0]
	v_pk_fma_f16 v17, v48, s27, v20 op_sel:[0,0,1] op_sel_hi:[1,0,0]
	v_pk_fma_f16 v20, v48, s27, v20 op_sel:[0,0,1] op_sel_hi:[1,0,0] neg_lo:[0,0,1] neg_hi:[0,0,1]
	v_bfi_b32 v52, s34, v17, v20
	v_pk_add_f16 v28, v52, v28
	v_mul_f16_sdwa v52, v50, s13 dst_sel:DWORD dst_unused:UNUSED_PAD src0_sel:WORD_1 src1_sel:DWORD
	v_fma_f16 v53, v48, s12, v52
	v_add_f16_e32 v23, v53, v23
	v_mul_f16_sdwa v53, v48, s12 dst_sel:DWORD dst_unused:UNUSED_PAD src0_sel:WORD_1 src1_sel:DWORD
	v_fma_f16 v52, v48, s12, -v52
	v_add_f16_e32 v52, v52, v21
	v_fma_f16 v21, v50, s13, v53
	v_add_f16_e32 v29, v21, v29
	v_mul_f16_sdwa v21, v50, s1 dst_sel:DWORD dst_unused:UNUSED_PAD src0_sel:WORD_1 src1_sel:DWORD
	v_add_f16_e32 v51, v54, v51
	v_fma_f16 v54, v50, s11, v53
	v_fma_f16 v53, v48, s5, v21
	v_add_f16_e32 v24, v53, v24
	v_mul_f16_sdwa v53, v48, s5 dst_sel:DWORD dst_unused:UNUSED_PAD src0_sel:WORD_1 src1_sel:DWORD
	v_fma_f16 v21, v48, s5, -v21
	v_add_f16_e32 v26, v21, v26
	v_fma_f16 v21, v50, s1, v53
	v_add_f16_e32 v33, v21, v33
	v_mul_f16_sdwa v21, v50, s25 dst_sel:DWORD dst_unused:UNUSED_PAD src0_sel:WORD_1 src1_sel:DWORD
	v_add_f16_e32 v25, v54, v25
	v_fma_f16 v54, v50, s0, v53
	;; [unrolled: 10-line block ×6, first 2 shown]
	v_fma_f16 v53, v48, s19, v21
	v_add_f16_e32 v46, v53, v46
	v_mul_f16_sdwa v53, v48, s19 dst_sel:DWORD dst_unused:UNUSED_PAD src0_sel:WORD_1 src1_sel:DWORD
	v_fma_f16 v21, v48, s19, -v21
	v_add_f16_e32 v47, v54, v47
	v_fma_f16 v54, v50, s22, v53
	v_add_f16_e32 v48, v21, v27
	v_fma_f16 v21, v50, s18, v53
	v_pk_add_f16 v53, v15, v16
	v_pk_add_f16 v15, v15, v16 neg_lo:[0,1] neg_hi:[0,1]
	v_add_f16_e32 v50, v21, v22
	v_pk_mul_f16 v21, v15, s29 op_sel_hi:[1,0]
	v_pk_fma_f16 v16, v53, s30, v21 op_sel:[0,0,1] op_sel_hi:[1,0,0]
	v_pk_fma_f16 v21, v53, s30, v21 op_sel:[0,0,1] op_sel_hi:[1,0,0] neg_lo:[0,0,1] neg_hi:[0,0,1]
	v_bfi_b32 v22, s34, v16, v21
	v_add_f16_e32 v51, v54, v51
	v_pk_add_f16 v54, v22, v28
	v_mul_f16_sdwa v22, v15, s33 dst_sel:DWORD dst_unused:UNUSED_PAD src0_sel:WORD_1 src1_sel:DWORD
	v_fma_f16 v27, v53, s17, v22
	v_add_f16_e32 v55, v27, v23
	v_mul_f16_sdwa v23, v53, s17 dst_sel:DWORD dst_unused:UNUSED_PAD src0_sel:WORD_1 src1_sel:DWORD
	v_fma_f16 v27, v15, s16, v23
	v_add_f16_e32 v56, v27, v25
	v_mul_f16_sdwa v25, v15, s26 dst_sel:DWORD dst_unused:UNUSED_PAD src0_sel:WORD_1 src1_sel:DWORD
	v_fma_f16 v22, v53, s17, -v22
	v_fma_f16 v27, v53, s27, v25
	v_add_f16_e32 v22, v22, v52
	v_add_f16_e32 v52, v27, v24
	v_mul_f16_sdwa v27, v53, s27 dst_sel:DWORD dst_unused:UNUSED_PAD src0_sel:WORD_1 src1_sel:DWORD
	v_fma_f16 v24, v15, s28, v27
	v_add_f16_e32 v57, v24, v31
	v_fma_f16 v24, v53, s27, -v25
	v_add_f16_e32 v24, v24, v26
	v_mul_f16_sdwa v26, v15, s9 dst_sel:DWORD dst_unused:UNUSED_PAD src0_sel:WORD_1 src1_sel:DWORD
	v_fma_f16 v25, v15, s26, v27
	v_fma_f16 v27, v53, s7, v26
	v_add_f16_e32 v58, v27, v30
	v_mul_f16_sdwa v27, v53, s7 dst_sel:DWORD dst_unused:UNUSED_PAD src0_sel:WORD_1 src1_sel:DWORD
	v_fma_f16 v28, v15, s6, v27
	v_fma_f16 v23, v15, s33, v23
	v_add_f16_e32 v35, v28, v35
	v_mul_f16_sdwa v28, v15, s23 dst_sel:DWORD dst_unused:UNUSED_PAD src0_sel:WORD_1 src1_sel:DWORD
	v_add_f16_e32 v23, v23, v29
	v_fma_f16 v27, v15, s9, v27
	v_fma_f16 v29, v53, s24, v28
	v_add_f16_e32 v27, v27, v37
	v_add_f16_e32 v37, v29, v34
	v_mul_f16_sdwa v29, v53, s24 dst_sel:DWORD dst_unused:UNUSED_PAD src0_sel:WORD_1 src1_sel:DWORD
	v_fma_f16 v30, v15, s25, v29
	v_fma_f16 v26, v53, s7, -v26
	v_add_f16_e32 v39, v30, v39
	v_mul_f16_sdwa v30, v15, s13 dst_sel:DWORD dst_unused:UNUSED_PAD src0_sel:WORD_1 src1_sel:DWORD
	v_add_f16_e32 v26, v26, v32
	v_fma_f16 v28, v53, s24, -v28
	v_fma_f16 v31, v53, s12, v30
	v_mul_f16_sdwa v32, v53, s12 dst_sel:DWORD dst_unused:UNUSED_PAD src0_sel:WORD_1 src1_sel:DWORD
	v_add_f16_e32 v28, v28, v36
	v_add_f16_e32 v36, v31, v38
	v_fma_f16 v31, v15, s11, v32
	v_fma_f16 v30, v53, s12, -v30
	v_add_f16_e32 v38, v31, v43
	v_add_f16_e32 v31, v30, v40
	v_fma_f16 v30, v15, s13, v32
	v_add_f16_e32 v32, v30, v45
	v_mul_f16_sdwa v30, v15, s18 dst_sel:DWORD dst_unused:UNUSED_PAD src0_sel:WORD_1 src1_sel:DWORD
	v_add_f16_e32 v25, v25, v33
	v_fma_f16 v33, v53, s19, v30
	v_mul_f16_sdwa v34, v53, s19 dst_sel:DWORD dst_unused:UNUSED_PAD src0_sel:WORD_1 src1_sel:DWORD
	v_bfi_b32 v4, s34, v5, v4
	v_fma_f16 v29, v15, s23, v29
	v_add_f16_e32 v40, v33, v42
	v_fma_f16 v33, v15, s22, v34
	v_fma_f16 v30, v53, s19, -v30
	v_pk_add_f16 v2, v4, v2
	v_bfi_b32 v4, s34, v7, v6
	v_add_f16_e32 v29, v29, v41
	v_add_f16_e32 v41, v33, v47
	;; [unrolled: 1-line block ×3, first 2 shown]
	v_fma_f16 v30, v15, s18, v34
	v_pk_add_f16 v2, v4, v2
	v_bfi_b32 v4, s34, v9, v8
	v_add_f16_e32 v34, v30, v49
	v_mul_f16_sdwa v30, v15, s0 dst_sel:DWORD dst_unused:UNUSED_PAD src0_sel:WORD_1 src1_sel:DWORD
	v_pk_add_f16 v2, v4, v2
	v_bfi_b32 v4, s34, v11, v10
	v_fma_f16 v42, v53, s5, v30
	v_mul_f16_sdwa v43, v53, s5 dst_sel:DWORD dst_unused:UNUSED_PAD src0_sel:WORD_1 src1_sel:DWORD
	v_fma_f16 v30, v53, s5, -v30
	v_pk_add_f16 v2, v4, v2
	v_bfi_b32 v4, s34, v14, v13
	v_fma_f16 v44, v15, s1, v43
	v_add_f16_e32 v45, v30, v48
	v_mul_u32_u24_e32 v30, 0x1dc, v1
	v_fma_f16 v43, v15, s0, v43
	v_lshlrev_b32_e32 v15, 2, v3
	v_pk_add_f16 v2, v4, v2
	v_bfi_b32 v4, s34, v19, v18
	v_add3_u32 v30, 0, v30, v15
	v_pk_add_f16 v2, v4, v2
	v_bfi_b32 v4, s34, v20, v17
	v_add_f16_e32 v42, v42, v46
	ds_write2_b32 v30, v12, v54 offset1:7
	v_pack_b32_f16 v12, v55, v56
	v_pack_b32_f16 v46, v52, v57
	v_pk_add_f16 v2, v4, v2
	v_bfi_b32 v4, s34, v21, v16
	ds_write2_b32 v30, v12, v46 offset0:14 offset1:21
	v_pack_b32_f16 v12, v58, v35
	v_pack_b32_f16 v35, v37, v39
	v_pk_add_f16 v2, v4, v2
	v_add_f16_e32 v44, v44, v51
	v_add_f16_e32 v43, v43, v50
	ds_write2_b32 v30, v12, v35 offset0:28 offset1:35
	v_pack_b32_f16 v12, v36, v38
	v_pack_b32_f16 v35, v40, v41
	ds_write_b32 v30, v2 offset:448
	v_mul_lo_u16_e32 v2, 31, v1
	ds_write2_b32 v30, v12, v35 offset0:42 offset1:49
	v_pack_b32_f16 v12, v42, v44
	v_pack_b32_f16 v35, v45, v43
	v_lshrrev_b16_e32 v2, 9, v2
	ds_write2_b32 v30, v12, v35 offset0:56 offset1:63
	v_pack_b32_f16 v12, v33, v34
	v_pack_b32_f16 v31, v31, v32
	v_mul_lo_u16_e32 v2, 17, v2
	ds_write2_b32 v30, v12, v31 offset0:70 offset1:77
	v_pack_b32_f16 v12, v28, v29
	v_pack_b32_f16 v26, v26, v27
	v_sub_u16_e32 v4, v1, v2
	v_mov_b32_e32 v2, 6
	ds_write2_b32 v30, v12, v26 offset0:84 offset1:91
	v_pack_b32_f16 v12, v24, v25
	v_pack_b32_f16 v22, v22, v23
	v_lshlrev_b32_sdwa v9, v2, v4 dst_sel:DWORD dst_unused:UNUSED_PAD src0_sel:DWORD src1_sel:BYTE_0
	ds_write2_b32 v30, v12, v22 offset0:98 offset1:105
	s_waitcnt lgkmcnt(0)
	s_barrier
	global_load_dwordx4 v[5:8], v9, s[20:21]
	global_load_dwordx4 v[27:30], v9, s[20:21] offset:16
	global_load_dwordx4 v[31:34], v9, s[20:21] offset:32
	;; [unrolled: 1-line block ×3, first 2 shown]
	v_mul_u32_u24_e32 v1, 28, v1
	v_add3_u32 v15, 0, v1, v15
	v_add_u32_e32 v9, 0x200, v15
	ds_read2_b32 v[9:10], v9 offset0:110 offset1:229
	v_add_u32_e32 v20, 0x1200, v15
	ds_read2_b32 v[1:2], v15 offset1:119
	ds_read2_b32 v[22:23], v20 offset0:38 offset1:157
	v_add_u32_e32 v20, 0x1600, v15
	v_add_u32_e32 v11, 0x600, v15
	;; [unrolled: 1-line block ×4, first 2 shown]
	ds_read2_b32 v[39:40], v20 offset0:20 offset1:139
	v_add_u32_e32 v20, 0x1800, v15
	ds_read2_b32 v[11:12], v11 offset0:92 offset1:211
	ds_read2_b32 v[13:14], v13 offset0:74 offset1:193
	;; [unrolled: 1-line block ×4, first 2 shown]
	ds_read_u16 v20, v15 offset:1430
	ds_read_b32 v52, v15 offset:7616
	s_waitcnt lgkmcnt(9)
	v_lshrrev_b32_e32 v21, 16, v9
	s_waitcnt lgkmcnt(8)
	v_lshrrev_b32_e32 v15, 16, v2
	;; [unrolled: 2-line block ×3, first 2 shown]
	v_lshrrev_b32_e32 v17, 16, v12
	s_waitcnt lgkmcnt(4)
	v_lshrrev_b32_e32 v25, 16, v13
	s_waitcnt lgkmcnt(2)
	v_lshrrev_b32_e32 v50, 16, v41
	v_lshrrev_b32_e32 v43, 16, v14
	;; [unrolled: 1-line block ×7, first 2 shown]
	s_waitcnt lgkmcnt(0)
	v_lshrrev_b32_e32 v57, 16, v52
	v_lshrrev_b32_e32 v48, 16, v39
	;; [unrolled: 1-line block ×3, first 2 shown]
	v_mul_lo_u32 v3, s10, v3
	s_waitcnt vmcnt(3)
	v_mul_f16_sdwa v24, v6, v21 dst_sel:DWORD dst_unused:UNUSED_PAD src0_sel:WORD_1 src1_sel:DWORD
	v_fma_f16 v53, v6, v9, v24
	v_mul_f16_sdwa v9, v6, v9 dst_sel:DWORD dst_unused:UNUSED_PAD src0_sel:WORD_1 src1_sel:DWORD
	v_fma_f16 v54, v6, v21, -v9
	v_mul_f16_sdwa v9, v5, v2 dst_sel:DWORD dst_unused:UNUSED_PAD src0_sel:WORD_1 src1_sel:DWORD
	v_mul_f16_sdwa v6, v20, v7 dst_sel:DWORD dst_unused:UNUSED_PAD src0_sel:DWORD src1_sel:WORD_1
	v_fma_f16 v55, v5, v15, -v9
	v_mul_f16_sdwa v9, v5, v15 dst_sel:DWORD dst_unused:UNUSED_PAD src0_sel:WORD_1 src1_sel:DWORD
	v_fma_f16 v24, v7, v10, v6
	v_mul_f16_sdwa v6, v7, v10 dst_sel:DWORD dst_unused:UNUSED_PAD src0_sel:WORD_1 src1_sel:DWORD
	v_fma_f16 v56, v5, v2, v9
	v_mul_f16_sdwa v2, v11, v8 dst_sel:DWORD dst_unused:UNUSED_PAD src0_sel:DWORD src1_sel:WORD_1
	v_fma_f16 v26, v20, v7, -v6
	v_fma_f16 v20, v16, v8, -v2
	v_mul_f16_sdwa v2, v16, v8 dst_sel:DWORD dst_unused:UNUSED_PAD src0_sel:DWORD src1_sel:WORD_1
	v_fma_f16 v21, v11, v8, v2
	s_waitcnt vmcnt(2)
	v_mul_f16_sdwa v2, v17, v27 dst_sel:DWORD dst_unused:UNUSED_PAD src0_sel:DWORD src1_sel:WORD_1
	v_fma_f16 v16, v12, v27, v2
	v_mul_f16_sdwa v2, v12, v27 dst_sel:DWORD dst_unused:UNUSED_PAD src0_sel:DWORD src1_sel:WORD_1
	v_fma_f16 v17, v17, v27, -v2
	v_mul_f16_sdwa v2, v25, v28 dst_sel:DWORD dst_unused:UNUSED_PAD src0_sel:DWORD src1_sel:WORD_1
	v_fma_f16 v12, v13, v28, v2
	v_mul_f16_sdwa v2, v13, v28 dst_sel:DWORD dst_unused:UNUSED_PAD src0_sel:DWORD src1_sel:WORD_1
	v_fma_f16 v13, v25, v28, -v2
	s_waitcnt vmcnt(0)
	v_mul_f16_sdwa v25, v50, v36 dst_sel:DWORD dst_unused:UNUSED_PAD src0_sel:DWORD src1_sel:WORD_1
	v_mul_f16_sdwa v2, v43, v29 dst_sel:DWORD dst_unused:UNUSED_PAD src0_sel:DWORD src1_sel:WORD_1
	v_fma_f16 v27, v41, v36, v25
	v_mul_f16_sdwa v25, v41, v36 dst_sel:DWORD dst_unused:UNUSED_PAD src0_sel:DWORD src1_sel:WORD_1
	v_fma_f16 v8, v14, v29, v2
	v_mul_f16_sdwa v2, v14, v29 dst_sel:DWORD dst_unused:UNUSED_PAD src0_sel:DWORD src1_sel:WORD_1
	v_mul_f16_sdwa v6, v45, v31 dst_sel:DWORD dst_unused:UNUSED_PAD src0_sel:DWORD src1_sel:WORD_1
	;; [unrolled: 1-line block ×3, first 2 shown]
	v_fma_f16 v28, v50, v36, -v25
	v_mul_f16_sdwa v25, v51, v37 dst_sel:DWORD dst_unused:UNUSED_PAD src0_sel:DWORD src1_sel:WORD_1
	v_fma_f16 v9, v43, v29, -v2
	v_mul_f16_sdwa v2, v44, v30 dst_sel:DWORD dst_unused:UNUSED_PAD src0_sel:DWORD src1_sel:WORD_1
	v_mul_f16_sdwa v5, v18, v30 dst_sel:DWORD dst_unused:UNUSED_PAD src0_sel:DWORD src1_sel:WORD_1
	v_fma_f16 v6, v19, v31, v6
	v_fma_f16 v7, v45, v31, -v7
	v_fma_f16 v29, v42, v37, v25
	v_mul_f16_sdwa v25, v42, v37 dst_sel:DWORD dst_unused:UNUSED_PAD src0_sel:DWORD src1_sel:WORD_1
	v_mul_f16_sdwa v31, v52, v38 dst_sel:DWORD dst_unused:UNUSED_PAD src0_sel:DWORD src1_sel:WORD_1
	v_fma_f16 v2, v18, v30, v2
	v_fma_f16 v5, v44, v30, -v5
	v_mul_f16_sdwa v10, v46, v32 dst_sel:DWORD dst_unused:UNUSED_PAD src0_sel:DWORD src1_sel:WORD_1
	v_mul_f16_sdwa v14, v47, v33 dst_sel:DWORD dst_unused:UNUSED_PAD src0_sel:DWORD src1_sel:WORD_1
	;; [unrolled: 1-line block ×3, first 2 shown]
	v_fma_f16 v30, v51, v37, -v25
	v_mul_f16_sdwa v25, v57, v38 dst_sel:DWORD dst_unused:UNUSED_PAD src0_sel:DWORD src1_sel:WORD_1
	v_fma_f16 v31, v57, v38, -v31
	v_fma_f16 v10, v22, v32, v10
	v_mul_f16_sdwa v11, v22, v32 dst_sel:DWORD dst_unused:UNUSED_PAD src0_sel:DWORD src1_sel:WORD_1
	v_fma_f16 v14, v23, v33, v14
	v_fma_f16 v15, v47, v33, -v15
	v_mul_f16_sdwa v18, v48, v34 dst_sel:DWORD dst_unused:UNUSED_PAD src0_sel:DWORD src1_sel:WORD_1
	v_mul_f16_sdwa v19, v39, v34 dst_sel:DWORD dst_unused:UNUSED_PAD src0_sel:DWORD src1_sel:WORD_1
	;; [unrolled: 1-line block ×3, first 2 shown]
	v_fma_f16 v25, v52, v38, v25
	v_sub_f16_e32 v33, v55, v31
	v_fma_f16 v11, v46, v32, -v11
	v_fma_f16 v18, v39, v34, v18
	v_fma_f16 v19, v48, v34, -v19
	v_fma_f16 v22, v40, v35, v22
	v_mul_f16_sdwa v23, v40, v35 dst_sel:DWORD dst_unused:UNUSED_PAD src0_sel:DWORD src1_sel:WORD_1
	v_add_f16_e32 v32, v56, v25
	v_mul_f16_e32 v34, 0xb5c8, v33
	v_mul_f16_e32 v36, 0xb964, v33
	;; [unrolled: 1-line block ×8, first 2 shown]
	v_fma_f16 v23, v49, v35, -v23
	v_fma_f16 v35, v32, s17, v34
	v_fma_f16 v34, v32, s17, -v34
	v_fma_f16 v37, v32, s7, v36
	;; [unrolled: 2-line block ×8, first 2 shown]
	v_fma_f16 v32, v32, s30, -v33
	v_add_f16_e32 v33, v55, v31
	v_sub_f16_e32 v49, v56, v25
	v_mul_f16_e32 v50, 0x3b76, v33
	v_mul_f16_e32 v52, 0x39e9, v33
	;; [unrolled: 1-line block ×8, first 2 shown]
	v_fma_f16 v51, v49, s33, v50
	v_fma_f16 v50, v49, s16, v50
	;; [unrolled: 1-line block ×16, first 2 shown]
	v_add_f16_e32 v49, v56, v1
	v_add_f16_sdwa v55, v55, v1 dst_sel:DWORD dst_unused:UNUSED_PAD src0_sel:DWORD src1_sel:WORD_1
	v_add_f16_e32 v35, v35, v1
	v_add_f16_sdwa v51, v51, v1 dst_sel:DWORD dst_unused:UNUSED_PAD src0_sel:DWORD src1_sel:WORD_1
	;; [unrolled: 2-line block ×17, first 2 shown]
	v_add_f16_e32 v33, v49, v53
	v_add_f16_e32 v33, v33, v24
	;; [unrolled: 1-line block ×29, first 2 shown]
	v_add_f16_sdwa v31, v33, v31 dst_sel:WORD_1 dst_unused:UNUSED_PAD src0_sel:DWORD src1_sel:DWORD
	v_add_f16_e32 v33, v54, v30
	v_sub_f16_e32 v30, v54, v30
	v_or_b32_e32 v25, v31, v25
	v_add_f16_e32 v31, v53, v29
	v_mul_f16_e32 v49, 0xb964, v30
	v_sub_f16_e32 v29, v53, v29
	v_fma_f16 v53, v31, s7, v49
	v_add_f16_e32 v35, v53, v35
	v_mul_f16_e32 v53, 0x39e9, v33
	v_fma_f16 v49, v31, s7, -v49
	v_add_f16_e32 v34, v49, v34
	v_fma_f16 v49, v29, s6, v53
	v_add_f16_e32 v49, v49, v50
	v_mul_f16_e32 v50, 0xbbf7, v30
	v_fma_f16 v54, v29, s9, v53
	v_fma_f16 v53, v31, s5, v50
	v_add_f16_e32 v37, v53, v37
	v_mul_f16_e32 v53, 0x2de8, v33
	v_fma_f16 v50, v31, s5, -v50
	v_add_f16_e32 v36, v50, v36
	v_fma_f16 v50, v29, s1, v53
	v_add_f16_e32 v50, v50, v52
	v_mul_f16_e32 v52, 0xba62, v30
	v_add_f16_e32 v51, v54, v51
	v_fma_f16 v54, v29, s0, v53
	v_fma_f16 v53, v31, s24, v52
	v_add_f16_e32 v39, v53, v39
	v_mul_f16_e32 v53, 0xb8d2, v33
	v_fma_f16 v52, v31, s24, -v52
	v_fma_f16 v55, v29, s25, v53
	v_add_f16_e32 v38, v52, v38
	v_fma_f16 v52, v29, s23, v53
	v_mul_f16_e32 v53, 0xb1e1, v30
	v_add_f16_e32 v54, v54, v56
	v_fma_f16 v56, v31, s30, v53
	v_add_f16_e32 v41, v56, v41
	v_mul_f16_e32 v56, 0xbbdd, v33
	v_fma_f16 v53, v31, s30, -v53
	v_add_f16_e32 v55, v55, v57
	v_fma_f16 v57, v29, s31, v56
	v_add_f16_e32 v40, v53, v40
	v_fma_f16 v53, v29, s29, v56
	v_mul_f16_e32 v56, 0x3836, v30
	v_add_f16_e32 v52, v52, v58
	v_fma_f16 v58, v31, s27, v56
	v_add_f16_e32 v43, v58, v43
	v_mul_f16_e32 v58, 0xbacd, v33
	v_fma_f16 v56, v31, s27, -v56
	v_add_f16_e32 v57, v57, v59
	;; [unrolled: 10-line block ×3, first 2 shown]
	v_fma_f16 v61, v29, s18, v60
	v_add_f16_e32 v44, v58, v44
	v_fma_f16 v58, v29, s22, v60
	v_mul_f16_e32 v60, 0x3b29, v30
	v_add_f16_e32 v56, v56, v62
	v_fma_f16 v62, v31, s12, v60
	v_add_f16_e32 v47, v62, v47
	v_mul_f16_e32 v62, 0x3722, v33
	v_fma_f16 v60, v31, s12, -v60
	v_mul_f16_e32 v30, 0x35c8, v30
	v_add_f16_e32 v61, v61, v63
	v_fma_f16 v63, v29, s11, v62
	v_add_f16_e32 v46, v60, v46
	v_fma_f16 v60, v29, s13, v62
	v_fma_f16 v62, v31, s17, v30
	v_mul_f16_e32 v33, 0x3b76, v33
	v_add_f16_e32 v48, v62, v48
	v_fma_f16 v62, v29, s16, v33
	v_fma_f16 v29, v29, s33, v33
	v_add_f16_e32 v1, v29, v1
	v_add_f16_e32 v29, v24, v27
	v_sub_f16_e32 v24, v24, v27
	v_add_f16_e32 v27, v26, v28
	v_sub_f16_e32 v26, v26, v28
	v_mul_f16_e32 v28, 0xbb29, v26
	v_fma_f16 v30, v31, s17, -v30
	v_fma_f16 v31, v29, s12, v28
	v_fma_f16 v28, v29, s12, -v28
	v_add_f16_e32 v28, v28, v34
	v_mul_f16_e32 v34, 0xba62, v26
	v_add_f16_e32 v30, v30, v32
	v_add_f16_e32 v31, v31, v35
	v_mul_f16_e32 v32, 0x3722, v27
	v_fma_f16 v35, v29, s24, v34
	v_fma_f16 v33, v24, s13, v32
	;; [unrolled: 1-line block ×3, first 2 shown]
	v_add_f16_e32 v35, v35, v37
	v_mul_f16_e32 v37, 0xb8d2, v27
	v_fma_f16 v34, v29, s24, -v34
	v_add_f16_e32 v32, v32, v49
	v_fma_f16 v49, v24, s25, v37
	v_add_f16_e32 v34, v34, v36
	v_fma_f16 v36, v24, s23, v37
	v_mul_f16_e32 v37, 0x31e1, v26
	v_add_f16_e32 v36, v36, v50
	v_fma_f16 v50, v29, s30, v37
	v_add_f16_e32 v39, v50, v39
	v_mul_f16_e32 v50, 0xbbdd, v27
	v_fma_f16 v37, v29, s30, -v37
	v_add_f16_e32 v33, v33, v51
	v_fma_f16 v51, v24, s29, v50
	v_add_f16_e32 v37, v37, v38
	v_fma_f16 v38, v24, s31, v50
	v_mul_f16_e32 v50, 0x3bb2, v26
	v_add_f16_e32 v38, v38, v52
	v_fma_f16 v52, v29, s19, v50
	;; [unrolled: 10-line block ×4, first 2 shown]
	v_add_f16_e32 v45, v56, v45
	v_mul_f16_e32 v56, 0x3b76, v27
	v_fma_f16 v53, v29, s17, -v53
	v_add_f16_e32 v58, v58, v64
	v_add_f16_e32 v54, v54, v57
	v_fma_f16 v57, v24, s33, v56
	v_add_f16_e32 v44, v53, v44
	v_fma_f16 v53, v24, s16, v56
	v_mul_f16_e32 v56, 0xbbf7, v26
	v_add_f16_e32 v53, v53, v58
	v_fma_f16 v58, v29, s5, v56
	v_add_f16_e32 v47, v58, v47
	v_mul_f16_e32 v58, 0x2de8, v27
	v_fma_f16 v56, v29, s5, -v56
	v_mul_f16_e32 v26, 0xb836, v26
	v_add_f16_e32 v55, v55, v59
	v_fma_f16 v59, v24, s0, v58
	v_add_f16_e32 v46, v56, v46
	v_fma_f16 v56, v24, s1, v58
	v_fma_f16 v58, v29, s27, v26
	v_mul_f16_e32 v27, 0xbacd, v27
	v_add_f16_e32 v48, v58, v48
	v_fma_f16 v58, v24, s28, v27
	v_fma_f16 v24, v24, s26, v27
	v_add_f16_e32 v1, v24, v1
	v_add_f16_e32 v24, v21, v22
	v_sub_f16_e32 v21, v21, v22
	v_add_f16_e32 v22, v20, v23
	v_sub_f16_e32 v20, v20, v23
	v_mul_f16_e32 v23, 0xbbf7, v20
	v_fma_f16 v26, v29, s27, -v26
	v_fma_f16 v27, v24, s5, v23
	v_mul_f16_e32 v29, 0x2de8, v22
	v_fma_f16 v23, v24, s5, -v23
	v_add_f16_e32 v26, v26, v30
	v_fma_f16 v30, v21, s0, v29
	v_add_f16_e32 v23, v23, v28
	v_fma_f16 v28, v21, s1, v29
	v_mul_f16_e32 v29, 0xb1e1, v20
	v_add_f16_e32 v27, v27, v31
	v_add_f16_e32 v28, v28, v32
	v_fma_f16 v31, v24, s30, v29
	v_mul_f16_e32 v32, 0xbbdd, v22
	v_fma_f16 v29, v24, s30, -v29
	v_add_f16_e32 v30, v30, v33
	v_fma_f16 v33, v21, s31, v32
	v_add_f16_e32 v29, v29, v34
	v_fma_f16 v32, v21, s29, v32
	v_mul_f16_e32 v34, 0x3bb2, v20
	v_add_f16_e32 v31, v31, v35
	v_add_f16_e32 v32, v32, v36
	v_fma_f16 v35, v24, s19, v34
	v_mul_f16_e32 v36, 0xb461, v22
	v_fma_f16 v34, v24, s19, -v34
	v_add_f16_e32 v35, v35, v39
	v_fma_f16 v39, v21, s18, v36
	v_add_f16_e32 v34, v34, v37
	v_fma_f16 v36, v21, s22, v36
	v_mul_f16_e32 v37, 0x35c8, v20
	v_add_f16_e32 v36, v36, v38
	v_fma_f16 v38, v24, s17, v37
	v_add_f16_e32 v38, v38, v41
	v_mul_f16_e32 v41, 0x3b76, v22
	v_fma_f16 v37, v24, s17, -v37
	v_add_f16_e32 v33, v33, v49
	v_fma_f16 v49, v21, s16, v41
	v_add_f16_e32 v37, v37, v40
	v_fma_f16 v40, v21, s33, v41
	v_mul_f16_e32 v41, 0xbb29, v20
	v_add_f16_e32 v40, v40, v50
	v_fma_f16 v50, v24, s12, v41
	v_add_f16_e32 v43, v50, v43
	;; [unrolled: 10-line block ×4, first 2 shown]
	v_mul_f16_e32 v53, 0xb8d2, v22
	v_fma_f16 v52, v24, s24, -v52
	v_mul_f16_e32 v20, 0x3964, v20
	v_add_f16_e32 v51, v51, v55
	v_fma_f16 v55, v21, s23, v53
	v_add_f16_e32 v46, v52, v46
	v_fma_f16 v52, v21, s25, v53
	v_fma_f16 v53, v24, s7, v20
	v_mul_f16_e32 v22, 0x39e9, v22
	v_add_f16_e32 v48, v53, v48
	v_fma_f16 v53, v21, s6, v22
	v_fma_f16 v21, v21, s9, v22
	v_add_f16_e32 v1, v21, v1
	v_add_f16_e32 v21, v16, v18
	v_sub_f16_e32 v16, v16, v18
	v_add_f16_e32 v18, v17, v19
	v_sub_f16_e32 v17, v17, v19
	v_mul_f16_e32 v19, 0xbbb2, v17
	v_fma_f16 v20, v24, s7, -v20
	v_fma_f16 v22, v21, s19, v19
	v_mul_f16_e32 v24, 0xb461, v18
	v_fma_f16 v19, v21, s19, -v19
	v_add_f16_e32 v20, v20, v26
	v_fma_f16 v26, v16, s22, v24
	v_add_f16_e32 v19, v19, v23
	v_fma_f16 v23, v16, s18, v24
	v_mul_f16_e32 v24, 0x3836, v17
	v_add_f16_e32 v22, v22, v27
	v_add_f16_e32 v23, v23, v28
	v_fma_f16 v27, v21, s27, v24
	v_mul_f16_e32 v28, 0xbacd, v18
	v_fma_f16 v24, v21, s27, -v24
	v_add_f16_e32 v26, v26, v30
	v_fma_f16 v30, v16, s26, v28
	v_add_f16_e32 v24, v24, v29
	v_fma_f16 v28, v16, s28, v28
	v_mul_f16_e32 v29, 0x3964, v17
	v_add_f16_e32 v27, v27, v31
	v_add_f16_e32 v28, v28, v32
	;; [unrolled: 10-line block ×4, first 2 shown]
	v_fma_f16 v39, v21, s30, v37
	v_mul_f16_e32 v40, 0xbbdd, v18
	v_fma_f16 v37, v21, s30, -v37
	v_add_f16_e32 v39, v39, v43
	v_fma_f16 v43, v16, s31, v40
	v_add_f16_e32 v37, v37, v41
	v_fma_f16 v40, v16, s29, v40
	v_mul_f16_e32 v41, 0x3bf7, v17
	v_add_f16_e32 v40, v40, v42
	v_fma_f16 v42, v21, s5, v41
	v_add_f16_e32 v42, v42, v45
	v_mul_f16_e32 v45, 0x2de8, v18
	v_fma_f16 v41, v21, s5, -v41
	v_add_f16_e32 v38, v38, v49
	v_fma_f16 v49, v16, s1, v45
	v_add_f16_e32 v41, v41, v44
	v_fma_f16 v44, v16, s0, v45
	v_mul_f16_e32 v45, 0xb5c8, v17
	v_add_f16_e32 v44, v44, v50
	v_fma_f16 v50, v21, s17, v45
	v_add_f16_e32 v47, v50, v47
	v_mul_f16_e32 v50, 0x3b76, v18
	v_fma_f16 v45, v21, s17, -v45
	v_mul_f16_e32 v17, 0xba62, v17
	v_add_f16_e32 v43, v43, v51
	v_fma_f16 v51, v16, s33, v50
	v_add_f16_e32 v45, v45, v46
	v_fma_f16 v46, v16, s16, v50
	v_fma_f16 v50, v21, s24, v17
	v_mul_f16_e32 v18, 0xb8d2, v18
	v_add_f16_e32 v48, v50, v48
	v_fma_f16 v50, v16, s25, v18
	v_fma_f16 v16, v16, s23, v18
	v_add_f16_e32 v18, v13, v15
	v_sub_f16_e32 v13, v13, v15
	v_fma_f16 v17, v21, s24, -v17
	v_add_f16_e32 v1, v16, v1
	v_add_f16_e32 v16, v12, v14
	v_sub_f16_e32 v12, v12, v14
	v_mul_f16_e32 v14, 0xba62, v13
	v_add_f16_e32 v17, v17, v20
	v_fma_f16 v15, v16, s24, v14
	v_mul_f16_e32 v20, 0xb8d2, v18
	v_fma_f16 v14, v16, s24, -v14
	v_fma_f16 v21, v12, s25, v20
	v_add_f16_e32 v14, v14, v19
	v_fma_f16 v19, v12, s23, v20
	v_mul_f16_e32 v20, 0x3bb2, v13
	v_add_f16_e32 v15, v15, v22
	v_add_f16_e32 v19, v19, v23
	v_fma_f16 v22, v16, s19, v20
	v_mul_f16_e32 v23, 0xb461, v18
	v_fma_f16 v20, v16, s19, -v20
	v_add_f16_e32 v21, v21, v26
	v_fma_f16 v26, v12, s18, v23
	v_add_f16_e32 v20, v20, v24
	v_fma_f16 v23, v12, s22, v23
	v_mul_f16_e32 v24, 0xb5c8, v13
	v_add_f16_e32 v22, v22, v27
	v_add_f16_e32 v23, v23, v28
	v_fma_f16 v27, v16, s17, v24
	v_mul_f16_e32 v28, 0x3b76, v18
	v_fma_f16 v24, v16, s17, -v24
	v_add_f16_e32 v26, v26, v30
	;; [unrolled: 10-line block ×4, first 2 shown]
	v_fma_f16 v38, v12, s1, v36
	v_add_f16_e32 v34, v34, v37
	v_fma_f16 v36, v12, s0, v36
	v_mul_f16_e32 v37, 0xb964, v13
	v_add_f16_e32 v60, v60, v66
	v_add_f16_e32 v35, v35, v39
	;; [unrolled: 1-line block ×3, first 2 shown]
	v_fma_f16 v39, v16, s7, v37
	v_mul_f16_e32 v40, 0x39e9, v18
	v_fma_f16 v37, v16, s7, -v37
	v_add_f16_e32 v56, v56, v60
	v_add_f16_e32 v39, v39, v42
	v_fma_f16 v42, v12, s9, v40
	v_add_f16_e32 v37, v37, v41
	v_fma_f16 v40, v12, s6, v40
	v_mul_f16_e32 v41, 0xb1e1, v13
	v_add_f16_e32 v52, v52, v56
	v_add_f16_e32 v38, v38, v43
	;; [unrolled: 1-line block ×3, first 2 shown]
	v_fma_f16 v43, v16, s30, v41
	v_mul_f16_e32 v44, 0xbbdd, v18
	v_add_f16_e32 v46, v46, v52
	v_add_f16_e32 v43, v43, v47
	v_fma_f16 v47, v12, s31, v44
	v_fma_f16 v41, v16, s30, -v41
	v_fma_f16 v44, v12, s29, v44
	v_mul_f16_e32 v13, 0x3b29, v13
	v_mul_f16_e32 v18, 0x3722, v18
	v_add_f16_e32 v41, v41, v45
	v_add_f16_e32 v44, v44, v46
	v_fma_f16 v45, v16, s12, v13
	v_fma_f16 v46, v12, s11, v18
	v_fma_f16 v13, v16, s12, -v13
	v_fma_f16 v12, v12, s13, v18
	v_add_f16_e32 v16, v9, v11
	v_sub_f16_e32 v9, v9, v11
	v_add_f16_e32 v1, v12, v1
	v_add_f16_e32 v12, v8, v10
	v_sub_f16_e32 v8, v8, v10
	v_mul_f16_e32 v10, 0xb836, v9
	v_fma_f16 v11, v12, s27, v10
	v_add_f16_e32 v11, v11, v15
	v_mul_f16_e32 v15, 0xbacd, v16
	v_fma_f16 v10, v12, s27, -v10
	v_add_f16_e32 v10, v10, v14
	v_fma_f16 v14, v8, s26, v15
	v_add_f16_e32 v13, v13, v17
	v_fma_f16 v17, v8, s28, v15
	v_add_f16_e32 v14, v14, v19
	v_mul_f16_e32 v19, 0x3722, v16
	v_add_f16_e32 v17, v17, v21
	v_mul_f16_e32 v15, 0x3b29, v9
	v_fma_f16 v21, v8, s11, v19
	v_fma_f16 v19, v8, s13, v19
	;; [unrolled: 1-line block ×3, first 2 shown]
	v_fma_f16 v15, v12, s12, -v15
	v_add_f16_e32 v19, v19, v23
	v_mul_f16_e32 v23, 0x2de8, v16
	v_add_f16_e32 v57, v57, v61
	v_add_f16_e32 v21, v21, v26
	;; [unrolled: 1-line block ×3, first 2 shown]
	v_mul_f16_e32 v20, 0xbbf7, v9
	v_fma_f16 v26, v8, s0, v23
	v_fma_f16 v23, v8, s1, v23
	v_add_f16_e32 v62, v62, v67
	v_add_f16_e32 v54, v54, v57
	;; [unrolled: 1-line block ×3, first 2 shown]
	v_fma_f16 v22, v12, s5, v20
	v_fma_f16 v20, v12, s5, -v20
	v_add_f16_e32 v23, v23, v28
	v_mul_f16_e32 v28, 0xb8d2, v16
	v_add_f16_e32 v63, v63, v65
	v_add_f16_e32 v58, v58, v62
	v_add_f16_e32 v49, v49, v54
	v_add_f16_e32 v26, v26, v30
	v_add_f16_e32 v20, v20, v24
	v_mul_f16_e32 v24, 0x3a62, v9
	v_fma_f16 v30, v8, s23, v28
	v_fma_f16 v28, v8, s25, v28
	v_add_f16_e32 v59, v59, v63
	v_add_f16_e32 v53, v53, v58
	;; [unrolled: 1-line block ×4, first 2 shown]
	v_fma_f16 v27, v12, s24, v24
	v_fma_f16 v24, v12, s24, -v24
	v_add_f16_e32 v49, v28, v32
	v_mul_f16_e32 v28, 0xb5c8, v9
	v_add_f16_e32 v55, v55, v59
	v_add_f16_e32 v50, v50, v53
	;; [unrolled: 1-line block ×3, first 2 shown]
	v_fma_f16 v29, v12, s17, v28
	v_add_f16_e32 v51, v51, v55
	v_add_f16_e32 v46, v46, v50
	;; [unrolled: 1-line block ×3, first 2 shown]
	v_mul_f16_e32 v29, 0x3b76, v16
	v_fma_f16 v28, v12, s17, -v28
	v_add_f16_e32 v47, v47, v51
	v_add_f16_e32 v51, v28, v34
	v_fma_f16 v28, v8, s16, v29
	v_add_f16_e32 v52, v28, v36
	v_mul_f16_e32 v28, 0xb1e1, v9
	v_add_f16_e32 v45, v45, v48
	v_add_f16_e32 v48, v30, v33
	v_fma_f16 v30, v8, s33, v29
	v_fma_f16 v29, v12, s30, v28
	v_add_f16_e32 v39, v29, v39
	v_mul_f16_e32 v29, 0xbbdd, v16
	v_fma_f16 v28, v12, s30, -v28
	v_add_f16_e32 v37, v28, v37
	v_fma_f16 v28, v8, s29, v29
	v_add_f16_e32 v40, v28, v40
	v_mul_f16_e32 v28, 0x3964, v9
	v_add_f16_e32 v38, v30, v38
	v_fma_f16 v30, v8, s31, v29
	v_fma_f16 v29, v12, s7, v28
	v_add_f16_e32 v43, v29, v43
	v_mul_f16_e32 v29, 0x39e9, v16
	v_fma_f16 v28, v12, s7, -v28
	v_add_f16_e32 v41, v28, v41
	v_fma_f16 v28, v8, s9, v29
	v_mul_f16_e32 v9, 0xbbb2, v9
	v_add_f16_e32 v44, v28, v44
	v_fma_f16 v28, v12, s19, v9
	v_mul_f16_e32 v16, 0xb461, v16
	v_add_f16_e32 v42, v30, v42
	v_fma_f16 v30, v8, s6, v29
	v_add_f16_e32 v45, v28, v45
	v_fma_f16 v28, v8, s22, v16
	v_fma_f16 v8, v8, s18, v16
	v_sub_f16_e32 v55, v5, v7
	v_add_f16_e32 v35, v8, v1
	v_add_f16_e32 v53, v2, v6
	v_mul_f16_e32 v1, 0xb1e1, v55
	v_add_f16_e32 v54, v5, v7
	v_sub_f16_e32 v36, v2, v6
	v_fma_f16 v2, v53, s30, v1
	v_add_f16_e32 v32, v2, v11
	v_mul_f16_e32 v2, 0xbbdd, v54
	v_fma_f16 v5, v36, s31, v2
	v_add_f16_sdwa v33, v5, v17 dst_sel:WORD_1 dst_unused:UNUSED_PAD src0_sel:DWORD src1_sel:DWORD
	v_mul_f16_e32 v5, 0x35c8, v55
	v_fma_f16 v6, v53, s17, v5
	v_add_f16_e32 v47, v30, v47
	v_add_f16_e32 v30, v6, v18
	v_mul_f16_e32 v6, 0x3b76, v54
	v_fma_f16 v7, v36, s16, v6
	v_add_f16_e32 v27, v27, v31
	v_add_f16_sdwa v31, v7, v21 dst_sel:WORD_1 dst_unused:UNUSED_PAD src0_sel:DWORD src1_sel:DWORD
	v_mul_f16_e32 v7, 0xb836, v55
	v_fma_f16 v8, v53, s27, v7
	v_add_f16_e32 v46, v28, v46
	v_fma_f16 v9, v12, s19, -v9
	v_add_f16_e32 v28, v8, v22
	v_mul_f16_e32 v8, 0xbacd, v54
	v_add_f16_e32 v34, v9, v13
	v_fma_f16 v9, v36, s28, v8
	v_fma_f16 v1, v53, s30, -v1
	v_add_f16_sdwa v29, v9, v26 dst_sel:WORD_1 dst_unused:UNUSED_PAD src0_sel:DWORD src1_sel:DWORD
	v_mul_f16_e32 v9, 0x3964, v55
	v_add_f16_e32 v1, v1, v10
	v_fma_f16 v10, v53, s7, v9
	v_add_f16_e32 v26, v10, v27
	v_mul_f16_e32 v10, 0x39e9, v54
	v_fma_f16 v11, v36, s6, v10
	v_add_f16_sdwa v27, v11, v48 dst_sel:WORD_1 dst_unused:UNUSED_PAD src0_sel:DWORD src1_sel:DWORD
	v_mul_f16_e32 v11, 0xba62, v55
	v_fma_f16 v12, v53, s24, v11
	v_add_f16_e32 v22, v12, v50
	v_mul_f16_e32 v12, 0xb8d2, v54
	v_fma_f16 v9, v53, s7, -v9
	v_fma_f16 v13, v36, s25, v12
	v_fma_f16 v2, v36, s29, v2
	v_add_f16_e32 v9, v9, v24
	v_add_f16_sdwa v24, v13, v38 dst_sel:WORD_1 dst_unused:UNUSED_PAD src0_sel:DWORD src1_sel:DWORD
	v_mul_f16_e32 v13, 0x3b29, v55
	v_add_f16_sdwa v2, v2, v14 dst_sel:WORD_1 dst_unused:UNUSED_PAD src0_sel:DWORD src1_sel:DWORD
	v_fma_f16 v7, v53, s27, -v7
	v_fma_f16 v14, v53, s12, v13
	v_fma_f16 v13, v53, s12, -v13
	v_fma_f16 v5, v53, s17, -v5
	v_fma_f16 v6, v36, s33, v6
	v_add_f16_e32 v7, v7, v20
	v_add_f16_e32 v20, v14, v39
	v_mul_f16_e32 v14, 0x3722, v54
	v_add_f16_e32 v13, v13, v37
	v_mul_f16_e32 v37, 0x2de8, v54
	v_add_f16_e32 v5, v5, v15
	v_add_f16_sdwa v6, v6, v19 dst_sel:WORD_1 dst_unused:UNUSED_PAD src0_sel:DWORD src1_sel:DWORD
	v_fma_f16 v8, v36, s26, v8
	v_fma_f16 v15, v36, s11, v14
	;; [unrolled: 1-line block ×3, first 2 shown]
	s_movk_i32 s1, 0x121
	v_add_f16_sdwa v8, v8, v23 dst_sel:WORD_1 dst_unused:UNUSED_PAD src0_sel:DWORD src1_sel:DWORD
	v_add_f16_sdwa v23, v15, v42 dst_sel:WORD_1 dst_unused:UNUSED_PAD src0_sel:DWORD src1_sel:DWORD
	v_mul_f16_e32 v15, 0xbbb2, v55
	v_mul_lo_u16_sdwa v0, v0, s1 dst_sel:DWORD dst_unused:UNUSED_PAD src0_sel:WORD_1 src1_sel:DWORD
	v_fma_f16 v16, v53, s19, v15
	v_add_u32_sdwa v0, v4, v0 dst_sel:DWORD dst_unused:UNUSED_PAD src0_sel:BYTE_0 src1_sel:DWORD
	v_add_f16_e32 v18, v16, v43
	v_mul_f16_e32 v16, 0xb461, v54
	v_mul_lo_u32 v39, s8, v0
	v_fma_f16 v17, v36, s22, v16
	v_mul_f16_e32 v38, 0x3bf7, v55
	v_add_f16_sdwa v21, v17, v47 dst_sel:WORD_1 dst_unused:UNUSED_PAD src0_sel:DWORD src1_sel:DWORD
	v_fma_f16 v17, v53, s5, v38
	v_fma_f16 v38, v53, s5, -v38
	v_add_f16_e32 v4, v38, v34
	v_fma_f16 v34, v36, s0, v37
	v_fma_f16 v10, v36, s9, v10
	v_fma_f16 v12, v36, s23, v12
	v_fma_f16 v14, v36, s13, v14
	v_fma_f16 v16, v36, s18, v16
	v_add_f16_sdwa v34, v34, v35 dst_sel:WORD_1 dst_unused:UNUSED_PAD src0_sel:DWORD src1_sel:DWORD
	v_add_lshl_u32 v35, v3, v39, 2
	v_add_u32_e32 v36, 17, v0
	v_cndmask_b32_e32 v35, -1, v35, vcc
	s_mov_b32 s0, s14
	v_mul_lo_u32 v36, s8, v36
	s_mov_b32 s1, s15
	buffer_store_dword v25, v35, s[0:3], s4 offen
	v_or_b32_e32 v25, v33, v32
	v_add_u32_e32 v33, 34, v0
	v_mul_lo_u32 v33, s8, v33
	v_add_lshl_u32 v32, v3, v36, 2
	v_cndmask_b32_e32 v32, -1, v32, vcc
	buffer_store_dword v25, v32, s[0:3], s4 offen
	v_or_b32_e32 v25, v31, v30
	v_add_lshl_u32 v30, v3, v33, 2
	v_add_u32_e32 v31, 51, v0
	v_mul_lo_u32 v31, s8, v31
	v_cndmask_b32_e32 v30, -1, v30, vcc
	buffer_store_dword v25, v30, s[0:3], s4 offen
	v_or_b32_e32 v25, v29, v28
	v_add_u32_e32 v29, 0x44, v0
	v_mul_lo_u32 v29, s8, v29
	v_add_lshl_u32 v28, v3, v31, 2
	v_cndmask_b32_e32 v28, -1, v28, vcc
	buffer_store_dword v25, v28, s[0:3], s4 offen
	v_or_b32_e32 v25, v27, v26
	v_add_lshl_u32 v26, v3, v29, 2
	v_add_u32_e32 v27, 0x55, v0
	v_mul_lo_u32 v27, s8, v27
	v_cndmask_b32_e32 v26, -1, v26, vcc
	buffer_store_dword v25, v26, s[0:3], s4 offen
	v_add_u32_e32 v25, 0x66, v0
	v_mul_lo_u32 v25, s8, v25
	v_or_b32_e32 v20, v23, v20
	v_add_u32_e32 v23, 0x77, v0
	v_or_b32_e32 v22, v24, v22
	v_add_lshl_u32 v24, v3, v27, 2
	v_mul_lo_u32 v23, s8, v23
	v_cndmask_b32_e32 v24, -1, v24, vcc
	v_or_b32_e32 v18, v21, v18
	v_add_u32_e32 v21, 0x88, v0
	v_add_f16_e32 v17, v17, v45
	v_add_f16_sdwa v19, v19, v46 dst_sel:WORD_1 dst_unused:UNUSED_PAD src0_sel:DWORD src1_sel:DWORD
	buffer_store_dword v22, v24, s[0:3], s4 offen
	v_add_lshl_u32 v22, v3, v25, 2
	v_mul_lo_u32 v21, s8, v21
	v_cndmask_b32_e32 v22, -1, v22, vcc
	v_or_b32_e32 v17, v19, v17
	v_add_u32_e32 v19, 0x99, v0
	buffer_store_dword v20, v22, s[0:3], s4 offen
	v_add_lshl_u32 v20, v3, v23, 2
	v_mul_lo_u32 v19, s8, v19
	v_cndmask_b32_e32 v20, -1, v20, vcc
	buffer_store_dword v18, v20, s[0:3], s4 offen
	v_add_lshl_u32 v18, v3, v21, 2
	v_cndmask_b32_e32 v18, -1, v18, vcc
	v_fma_f16 v15, v53, s19, -v15
	buffer_store_dword v17, v18, s[0:3], s4 offen
	v_add_lshl_u32 v17, v3, v19, 2
	v_add_u32_e32 v18, 0xaa, v0
	v_add_f16_e32 v15, v15, v41
	v_add_f16_sdwa v16, v16, v44 dst_sel:WORD_1 dst_unused:UNUSED_PAD src0_sel:DWORD src1_sel:DWORD
	v_or_b32_e32 v4, v34, v4
	v_mul_lo_u32 v18, s8, v18
	v_cndmask_b32_e32 v17, -1, v17, vcc
	buffer_store_dword v4, v17, s[0:3], s4 offen
	v_or_b32_e32 v4, v16, v15
	v_add_u32_e32 v16, 0xbb, v0
	v_mul_lo_u32 v16, s8, v16
	v_add_lshl_u32 v15, v3, v18, 2
	v_add_f16_sdwa v14, v14, v40 dst_sel:WORD_1 dst_unused:UNUSED_PAD src0_sel:DWORD src1_sel:DWORD
	v_cndmask_b32_e32 v15, -1, v15, vcc
	v_fma_f16 v11, v53, s24, -v11
	buffer_store_dword v4, v15, s[0:3], s4 offen
	v_or_b32_e32 v4, v14, v13
	v_add_lshl_u32 v13, v3, v16, 2
	v_add_u32_e32 v14, 0xcc, v0
	v_add_f16_e32 v11, v11, v51
	v_add_f16_sdwa v12, v12, v52 dst_sel:WORD_1 dst_unused:UNUSED_PAD src0_sel:DWORD src1_sel:DWORD
	v_mul_lo_u32 v14, s8, v14
	v_cndmask_b32_e32 v13, -1, v13, vcc
	buffer_store_dword v4, v13, s[0:3], s4 offen
	v_or_b32_e32 v4, v12, v11
	v_add_u32_e32 v12, 0xdd, v0
	v_mul_lo_u32 v12, s8, v12
	v_add_lshl_u32 v11, v3, v14, 2
	v_add_f16_sdwa v10, v10, v49 dst_sel:WORD_1 dst_unused:UNUSED_PAD src0_sel:DWORD src1_sel:DWORD
	v_cndmask_b32_e32 v11, -1, v11, vcc
	buffer_store_dword v4, v11, s[0:3], s4 offen
	v_or_b32_e32 v4, v10, v9
	v_add_lshl_u32 v9, v3, v12, 2
	v_add_u32_e32 v10, 0xee, v0
	v_mul_lo_u32 v10, s8, v10
	v_cndmask_b32_e32 v9, -1, v9, vcc
	buffer_store_dword v4, v9, s[0:3], s4 offen
	v_or_b32_e32 v4, v8, v7
	v_add_u32_e32 v8, 0xff, v0
	v_add_u32_e32 v0, 0x110, v0
	v_mul_lo_u32 v8, s8, v8
	v_mul_lo_u32 v0, s8, v0
	v_add_lshl_u32 v7, v3, v10, 2
	v_cndmask_b32_e32 v7, -1, v7, vcc
	buffer_store_dword v4, v7, s[0:3], s4 offen
	v_or_b32_e32 v4, v6, v5
	v_add_lshl_u32 v5, v3, v8, 2
	v_add_lshl_u32 v0, v3, v0, 2
	v_cndmask_b32_e32 v5, -1, v5, vcc
	v_or_b32_e32 v1, v2, v1
	v_cndmask_b32_e32 v0, -1, v0, vcc
	buffer_store_dword v4, v5, s[0:3], s4 offen
	buffer_store_dword v1, v0, s[0:3], s4 offen
	s_endpgm
	.section	.rodata,"a",@progbits
	.p2align	6, 0x0
	.amdhsa_kernel fft_rtc_back_len289_factors_17_17_wgs_119_tpt_17_half_op_CI_CI_sbcc_dirReg_intrinsicReadWrite
		.amdhsa_group_segment_fixed_size 0
		.amdhsa_private_segment_fixed_size 0
		.amdhsa_kernarg_size 112
		.amdhsa_user_sgpr_count 6
		.amdhsa_user_sgpr_private_segment_buffer 1
		.amdhsa_user_sgpr_dispatch_ptr 0
		.amdhsa_user_sgpr_queue_ptr 0
		.amdhsa_user_sgpr_kernarg_segment_ptr 1
		.amdhsa_user_sgpr_dispatch_id 0
		.amdhsa_user_sgpr_flat_scratch_init 0
		.amdhsa_user_sgpr_private_segment_size 0
		.amdhsa_uses_dynamic_stack 0
		.amdhsa_system_sgpr_private_segment_wavefront_offset 0
		.amdhsa_system_sgpr_workgroup_id_x 1
		.amdhsa_system_sgpr_workgroup_id_y 0
		.amdhsa_system_sgpr_workgroup_id_z 0
		.amdhsa_system_sgpr_workgroup_info 0
		.amdhsa_system_vgpr_workitem_id 0
		.amdhsa_next_free_vgpr 69
		.amdhsa_next_free_sgpr 51
		.amdhsa_reserve_vcc 1
		.amdhsa_reserve_flat_scratch 0
		.amdhsa_float_round_mode_32 0
		.amdhsa_float_round_mode_16_64 0
		.amdhsa_float_denorm_mode_32 3
		.amdhsa_float_denorm_mode_16_64 3
		.amdhsa_dx10_clamp 1
		.amdhsa_ieee_mode 1
		.amdhsa_fp16_overflow 0
		.amdhsa_exception_fp_ieee_invalid_op 0
		.amdhsa_exception_fp_denorm_src 0
		.amdhsa_exception_fp_ieee_div_zero 0
		.amdhsa_exception_fp_ieee_overflow 0
		.amdhsa_exception_fp_ieee_underflow 0
		.amdhsa_exception_fp_ieee_inexact 0
		.amdhsa_exception_int_div_zero 0
	.end_amdhsa_kernel
	.text
.Lfunc_end0:
	.size	fft_rtc_back_len289_factors_17_17_wgs_119_tpt_17_half_op_CI_CI_sbcc_dirReg_intrinsicReadWrite, .Lfunc_end0-fft_rtc_back_len289_factors_17_17_wgs_119_tpt_17_half_op_CI_CI_sbcc_dirReg_intrinsicReadWrite
                                        ; -- End function
	.section	.AMDGPU.csdata,"",@progbits
; Kernel info:
; codeLenInByte = 13096
; NumSgprs: 55
; NumVgprs: 69
; ScratchSize: 0
; MemoryBound: 0
; FloatMode: 240
; IeeeMode: 1
; LDSByteSize: 0 bytes/workgroup (compile time only)
; SGPRBlocks: 6
; VGPRBlocks: 17
; NumSGPRsForWavesPerEU: 55
; NumVGPRsForWavesPerEU: 69
; Occupancy: 3
; WaveLimiterHint : 0
; COMPUTE_PGM_RSRC2:SCRATCH_EN: 0
; COMPUTE_PGM_RSRC2:USER_SGPR: 6
; COMPUTE_PGM_RSRC2:TRAP_HANDLER: 0
; COMPUTE_PGM_RSRC2:TGID_X_EN: 1
; COMPUTE_PGM_RSRC2:TGID_Y_EN: 0
; COMPUTE_PGM_RSRC2:TGID_Z_EN: 0
; COMPUTE_PGM_RSRC2:TIDIG_COMP_CNT: 0
	.type	__hip_cuid_9f1c0b3be9894590,@object ; @__hip_cuid_9f1c0b3be9894590
	.section	.bss,"aw",@nobits
	.globl	__hip_cuid_9f1c0b3be9894590
__hip_cuid_9f1c0b3be9894590:
	.byte	0                               ; 0x0
	.size	__hip_cuid_9f1c0b3be9894590, 1

	.ident	"AMD clang version 19.0.0git (https://github.com/RadeonOpenCompute/llvm-project roc-6.4.0 25133 c7fe45cf4b819c5991fe208aaa96edf142730f1d)"
	.section	".note.GNU-stack","",@progbits
	.addrsig
	.addrsig_sym __hip_cuid_9f1c0b3be9894590
	.amdgpu_metadata
---
amdhsa.kernels:
  - .args:
      - .actual_access:  read_only
        .address_space:  global
        .offset:         0
        .size:           8
        .value_kind:     global_buffer
      - .address_space:  global
        .offset:         8
        .size:           8
        .value_kind:     global_buffer
      - .offset:         16
        .size:           8
        .value_kind:     by_value
      - .actual_access:  read_only
        .address_space:  global
        .offset:         24
        .size:           8
        .value_kind:     global_buffer
      - .actual_access:  read_only
        .address_space:  global
        .offset:         32
        .size:           8
        .value_kind:     global_buffer
      - .actual_access:  read_only
        .address_space:  global
        .offset:         40
        .size:           8
        .value_kind:     global_buffer
      - .offset:         48
        .size:           8
        .value_kind:     by_value
      - .actual_access:  read_only
        .address_space:  global
        .offset:         56
        .size:           8
        .value_kind:     global_buffer
      - .actual_access:  read_only
        .address_space:  global
        .offset:         64
        .size:           8
        .value_kind:     global_buffer
      - .offset:         72
        .size:           4
        .value_kind:     by_value
      - .actual_access:  read_only
        .address_space:  global
        .offset:         80
        .size:           8
        .value_kind:     global_buffer
      - .actual_access:  read_only
        .address_space:  global
        .offset:         88
        .size:           8
        .value_kind:     global_buffer
      - .address_space:  global
        .offset:         96
        .size:           8
        .value_kind:     global_buffer
      - .address_space:  global
        .offset:         104
        .size:           8
        .value_kind:     global_buffer
    .group_segment_fixed_size: 0
    .kernarg_segment_align: 8
    .kernarg_segment_size: 112
    .language:       OpenCL C
    .language_version:
      - 2
      - 0
    .max_flat_workgroup_size: 119
    .name:           fft_rtc_back_len289_factors_17_17_wgs_119_tpt_17_half_op_CI_CI_sbcc_dirReg_intrinsicReadWrite
    .private_segment_fixed_size: 0
    .sgpr_count:     55
    .sgpr_spill_count: 0
    .symbol:         fft_rtc_back_len289_factors_17_17_wgs_119_tpt_17_half_op_CI_CI_sbcc_dirReg_intrinsicReadWrite.kd
    .uniform_work_group_size: 1
    .uses_dynamic_stack: false
    .vgpr_count:     69
    .vgpr_spill_count: 0
    .wavefront_size: 64
amdhsa.target:   amdgcn-amd-amdhsa--gfx906
amdhsa.version:
  - 1
  - 2
...

	.end_amdgpu_metadata
